;; amdgpu-corpus repo=ROCm/rocFFT kind=compiled arch=gfx1030 opt=O3
	.text
	.amdgcn_target "amdgcn-amd-amdhsa--gfx1030"
	.amdhsa_code_object_version 6
	.protected	fft_rtc_fwd_len595_factors_7_17_5_wgs_51_tpt_17_halfLds_half_op_CI_CI_sbrr_dirReg ; -- Begin function fft_rtc_fwd_len595_factors_7_17_5_wgs_51_tpt_17_halfLds_half_op_CI_CI_sbrr_dirReg
	.globl	fft_rtc_fwd_len595_factors_7_17_5_wgs_51_tpt_17_halfLds_half_op_CI_CI_sbrr_dirReg
	.p2align	8
	.type	fft_rtc_fwd_len595_factors_7_17_5_wgs_51_tpt_17_halfLds_half_op_CI_CI_sbrr_dirReg,@function
fft_rtc_fwd_len595_factors_7_17_5_wgs_51_tpt_17_halfLds_half_op_CI_CI_sbrr_dirReg: ; @fft_rtc_fwd_len595_factors_7_17_5_wgs_51_tpt_17_halfLds_half_op_CI_CI_sbrr_dirReg
; %bb.0:
	s_clause 0x1
	s_load_dwordx4 s[16:19], s[4:5], 0x18
	s_load_dwordx4 s[12:15], s[4:5], 0x0
	v_mul_u32_u24_e32 v1, 0xf10, v0
	v_mov_b32_e32 v5, 0
	v_mov_b32_e32 v3, 0
	v_mov_b32_e32 v4, 0
	s_load_dwordx4 s[8:11], s[4:5], 0x58
	s_waitcnt lgkmcnt(0)
	s_load_dwordx2 s[20:21], s[16:17], 0x0
	s_load_dwordx2 s[2:3], s[18:19], 0x0
	v_lshrrev_b32_e32 v1, 16, v1
	v_cmp_lt_u64_e64 s0, s[14:15], 2
	v_mov_b32_e32 v21, v4
	v_mov_b32_e32 v20, v3
	v_mad_u64_u32 v[1:2], null, s6, 3, v[1:2]
	v_mov_b32_e32 v2, v5
	s_and_b32 vcc_lo, exec_lo, s0
	v_mov_b32_e32 v23, v2
	v_mov_b32_e32 v22, v1
	s_cbranch_vccnz .LBB0_8
; %bb.1:
	s_load_dwordx2 s[0:1], s[4:5], 0x10
	v_mov_b32_e32 v3, 0
	v_mov_b32_e32 v4, 0
	s_add_u32 s6, s18, 8
	v_mov_b32_e32 v8, v2
	s_addc_u32 s7, s19, 0
	v_mov_b32_e32 v7, v1
	v_mov_b32_e32 v21, v4
	s_add_u32 s22, s16, 8
	v_mov_b32_e32 v20, v3
	s_addc_u32 s23, s17, 0
	s_mov_b64 s[26:27], 1
	s_waitcnt lgkmcnt(0)
	s_add_u32 s24, s0, 8
	s_addc_u32 s25, s1, 0
.LBB0_2:                                ; =>This Inner Loop Header: Depth=1
	s_load_dwordx2 s[28:29], s[24:25], 0x0
                                        ; implicit-def: $vgpr22_vgpr23
	s_mov_b32 s0, exec_lo
	s_waitcnt lgkmcnt(0)
	v_or_b32_e32 v6, s29, v8
	v_cmpx_ne_u64_e32 0, v[5:6]
	s_xor_b32 s1, exec_lo, s0
	s_cbranch_execz .LBB0_4
; %bb.3:                                ;   in Loop: Header=BB0_2 Depth=1
	v_cvt_f32_u32_e32 v2, s28
	v_cvt_f32_u32_e32 v6, s29
	s_sub_u32 s0, 0, s28
	s_subb_u32 s30, 0, s29
	v_fmac_f32_e32 v2, 0x4f800000, v6
	v_rcp_f32_e32 v2, v2
	v_mul_f32_e32 v2, 0x5f7ffffc, v2
	v_mul_f32_e32 v6, 0x2f800000, v2
	v_trunc_f32_e32 v6, v6
	v_fmac_f32_e32 v2, 0xcf800000, v6
	v_cvt_u32_f32_e32 v6, v6
	v_cvt_u32_f32_e32 v2, v2
	v_mul_lo_u32 v9, s0, v6
	v_mul_hi_u32 v10, s0, v2
	v_mul_lo_u32 v11, s30, v2
	v_add_nc_u32_e32 v9, v10, v9
	v_mul_lo_u32 v10, s0, v2
	v_add_nc_u32_e32 v9, v9, v11
	v_mul_hi_u32 v11, v2, v10
	v_mul_lo_u32 v12, v2, v9
	v_mul_hi_u32 v13, v2, v9
	v_mul_hi_u32 v14, v6, v10
	v_mul_lo_u32 v10, v6, v10
	v_mul_hi_u32 v15, v6, v9
	v_mul_lo_u32 v9, v6, v9
	v_add_co_u32 v11, vcc_lo, v11, v12
	v_add_co_ci_u32_e32 v12, vcc_lo, 0, v13, vcc_lo
	v_add_co_u32 v10, vcc_lo, v11, v10
	v_add_co_ci_u32_e32 v10, vcc_lo, v12, v14, vcc_lo
	v_add_co_ci_u32_e32 v11, vcc_lo, 0, v15, vcc_lo
	v_add_co_u32 v9, vcc_lo, v10, v9
	v_add_co_ci_u32_e32 v10, vcc_lo, 0, v11, vcc_lo
	v_add_co_u32 v2, vcc_lo, v2, v9
	v_add_co_ci_u32_e32 v6, vcc_lo, v6, v10, vcc_lo
	v_mul_hi_u32 v9, s0, v2
	v_mul_lo_u32 v11, s30, v2
	v_mul_lo_u32 v10, s0, v6
	v_add_nc_u32_e32 v9, v9, v10
	v_mul_lo_u32 v10, s0, v2
	v_add_nc_u32_e32 v9, v9, v11
	v_mul_hi_u32 v11, v2, v10
	v_mul_lo_u32 v12, v2, v9
	v_mul_hi_u32 v13, v2, v9
	v_mul_hi_u32 v14, v6, v10
	v_mul_lo_u32 v10, v6, v10
	v_mul_hi_u32 v15, v6, v9
	v_mul_lo_u32 v9, v6, v9
	v_add_co_u32 v11, vcc_lo, v11, v12
	v_add_co_ci_u32_e32 v12, vcc_lo, 0, v13, vcc_lo
	v_add_co_u32 v10, vcc_lo, v11, v10
	v_add_co_ci_u32_e32 v10, vcc_lo, v12, v14, vcc_lo
	v_add_co_ci_u32_e32 v11, vcc_lo, 0, v15, vcc_lo
	v_add_co_u32 v9, vcc_lo, v10, v9
	v_add_co_ci_u32_e32 v10, vcc_lo, 0, v11, vcc_lo
	v_add_co_u32 v2, vcc_lo, v2, v9
	v_add_co_ci_u32_e32 v6, vcc_lo, v6, v10, vcc_lo
	v_mul_hi_u32 v15, v7, v2
	v_mad_u64_u32 v[11:12], null, v8, v2, 0
	v_mad_u64_u32 v[9:10], null, v7, v6, 0
	v_mad_u64_u32 v[13:14], null, v8, v6, 0
	v_add_co_u32 v2, vcc_lo, v15, v9
	v_add_co_ci_u32_e32 v6, vcc_lo, 0, v10, vcc_lo
	v_add_co_u32 v2, vcc_lo, v2, v11
	v_add_co_ci_u32_e32 v2, vcc_lo, v6, v12, vcc_lo
	v_add_co_ci_u32_e32 v6, vcc_lo, 0, v14, vcc_lo
	v_add_co_u32 v2, vcc_lo, v2, v13
	v_add_co_ci_u32_e32 v6, vcc_lo, 0, v6, vcc_lo
	v_mul_lo_u32 v11, s29, v2
	v_mad_u64_u32 v[9:10], null, s28, v2, 0
	v_mul_lo_u32 v12, s28, v6
	v_sub_co_u32 v9, vcc_lo, v7, v9
	v_add3_u32 v10, v10, v12, v11
	v_sub_nc_u32_e32 v11, v8, v10
	v_subrev_co_ci_u32_e64 v11, s0, s29, v11, vcc_lo
	v_add_co_u32 v12, s0, v2, 2
	v_add_co_ci_u32_e64 v13, s0, 0, v6, s0
	v_sub_co_u32 v14, s0, v9, s28
	v_sub_co_ci_u32_e32 v10, vcc_lo, v8, v10, vcc_lo
	v_subrev_co_ci_u32_e64 v11, s0, 0, v11, s0
	v_cmp_le_u32_e32 vcc_lo, s28, v14
	v_cmp_eq_u32_e64 s0, s29, v10
	v_cndmask_b32_e64 v14, 0, -1, vcc_lo
	v_cmp_le_u32_e32 vcc_lo, s29, v11
	v_cndmask_b32_e64 v15, 0, -1, vcc_lo
	v_cmp_le_u32_e32 vcc_lo, s28, v9
	;; [unrolled: 2-line block ×3, first 2 shown]
	v_cndmask_b32_e64 v16, 0, -1, vcc_lo
	v_cmp_eq_u32_e32 vcc_lo, s29, v11
	v_cndmask_b32_e64 v9, v16, v9, s0
	v_cndmask_b32_e32 v11, v15, v14, vcc_lo
	v_add_co_u32 v14, vcc_lo, v2, 1
	v_add_co_ci_u32_e32 v15, vcc_lo, 0, v6, vcc_lo
	v_cmp_ne_u32_e32 vcc_lo, 0, v11
	v_cndmask_b32_e32 v10, v15, v13, vcc_lo
	v_cndmask_b32_e32 v11, v14, v12, vcc_lo
	v_cmp_ne_u32_e32 vcc_lo, 0, v9
	v_cndmask_b32_e32 v23, v6, v10, vcc_lo
	v_cndmask_b32_e32 v22, v2, v11, vcc_lo
.LBB0_4:                                ;   in Loop: Header=BB0_2 Depth=1
	s_andn2_saveexec_b32 s0, s1
	s_cbranch_execz .LBB0_6
; %bb.5:                                ;   in Loop: Header=BB0_2 Depth=1
	v_cvt_f32_u32_e32 v2, s28
	s_sub_i32 s1, 0, s28
	v_mov_b32_e32 v23, v5
	v_rcp_iflag_f32_e32 v2, v2
	v_mul_f32_e32 v2, 0x4f7ffffe, v2
	v_cvt_u32_f32_e32 v2, v2
	v_mul_lo_u32 v6, s1, v2
	v_mul_hi_u32 v6, v2, v6
	v_add_nc_u32_e32 v2, v2, v6
	v_mul_hi_u32 v2, v7, v2
	v_mul_lo_u32 v6, v2, s28
	v_add_nc_u32_e32 v9, 1, v2
	v_sub_nc_u32_e32 v6, v7, v6
	v_subrev_nc_u32_e32 v10, s28, v6
	v_cmp_le_u32_e32 vcc_lo, s28, v6
	v_cndmask_b32_e32 v6, v6, v10, vcc_lo
	v_cndmask_b32_e32 v2, v2, v9, vcc_lo
	v_cmp_le_u32_e32 vcc_lo, s28, v6
	v_add_nc_u32_e32 v9, 1, v2
	v_cndmask_b32_e32 v22, v2, v9, vcc_lo
.LBB0_6:                                ;   in Loop: Header=BB0_2 Depth=1
	s_or_b32 exec_lo, exec_lo, s0
	v_mul_lo_u32 v2, v23, s28
	v_mul_lo_u32 v6, v22, s29
	s_load_dwordx2 s[0:1], s[22:23], 0x0
	v_mad_u64_u32 v[9:10], null, v22, s28, 0
	s_load_dwordx2 s[28:29], s[6:7], 0x0
	s_add_u32 s26, s26, 1
	s_addc_u32 s27, s27, 0
	s_add_u32 s6, s6, 8
	s_addc_u32 s7, s7, 0
	s_add_u32 s22, s22, 8
	v_add3_u32 v2, v10, v6, v2
	v_sub_co_u32 v6, vcc_lo, v7, v9
	s_addc_u32 s23, s23, 0
	s_add_u32 s24, s24, 8
	v_sub_co_ci_u32_e32 v2, vcc_lo, v8, v2, vcc_lo
	s_addc_u32 s25, s25, 0
	s_waitcnt lgkmcnt(0)
	v_mul_lo_u32 v7, s0, v2
	v_mul_lo_u32 v8, s1, v6
	v_mad_u64_u32 v[3:4], null, s0, v6, v[3:4]
	v_mul_lo_u32 v2, s28, v2
	v_mul_lo_u32 v9, s29, v6
	v_mad_u64_u32 v[20:21], null, s28, v6, v[20:21]
	v_cmp_ge_u64_e64 s0, s[26:27], s[14:15]
	v_add3_u32 v4, v8, v4, v7
	v_add3_u32 v21, v9, v21, v2
	s_and_b32 vcc_lo, exec_lo, s0
	s_cbranch_vccnz .LBB0_8
; %bb.7:                                ;   in Loop: Header=BB0_2 Depth=1
	v_mov_b32_e32 v7, v22
	v_mov_b32_e32 v8, v23
	s_branch .LBB0_2
.LBB0_8:
	s_load_dwordx2 s[0:1], s[4:5], 0x28
	v_mul_hi_u32 v10, 0xf0f0f10, v0
	s_lshl_b64 s[6:7], s[14:15], 3
                                        ; implicit-def: $sgpr14
                                        ; implicit-def: $vgpr28
                                        ; implicit-def: $vgpr29
                                        ; implicit-def: $vgpr14
                                        ; implicit-def: $vgpr15
                                        ; implicit-def: $vgpr16
	s_add_u32 s4, s18, s6
	s_addc_u32 s5, s19, s7
	s_waitcnt lgkmcnt(0)
	v_cmp_gt_u64_e32 vcc_lo, s[0:1], v[22:23]
	v_cmp_le_u64_e64 s0, s[0:1], v[22:23]
	s_and_saveexec_b32 s1, s0
	s_xor_b32 s0, exec_lo, s1
; %bb.9:
	v_mul_u32_u24_e32 v2, 17, v10
	s_mov_b32 s14, 0
                                        ; implicit-def: $vgpr10
                                        ; implicit-def: $vgpr3_vgpr4
	v_sub_nc_u32_e32 v28, v0, v2
                                        ; implicit-def: $vgpr0
	v_add_nc_u32_e32 v29, 17, v28
	v_add_nc_u32_e32 v14, 34, v28
	v_add_nc_u32_e32 v15, 51, v28
	v_add_nc_u32_e32 v16, 0x44, v28
; %bb.10:
	s_or_saveexec_b32 s1, s0
	v_mov_b32_e32 v62, s14
	v_mov_b32_e32 v61, s14
	v_mov_b32_e32 v66, s14
	v_mov_b32_e32 v58, s14
	v_mov_b32_e32 v76, s14
	v_mov_b32_e32 v57, s14
	v_mov_b32_e32 v74, s14
	v_mov_b32_e32 v40, s14
	v_mov_b32_e32 v68, s14
	v_mov_b32_e32 v2, s14
	v_mov_b32_e32 v5, s14
	v_mov_b32_e32 v65, s14
	v_mov_b32_e32 v6, s14
	v_mov_b32_e32 v81, s14
	v_mov_b32_e32 v7, s14
	v_mov_b32_e32 v72, s14
	v_mov_b32_e32 v8, s14
	v_mov_b32_e32 v71, s14
	v_mov_b32_e32 v9, s14
	v_mov_b32_e32 v69, s14
                                        ; implicit-def: $vgpr84
                                        ; implicit-def: $vgpr73
                                        ; implicit-def: $vgpr85
                                        ; implicit-def: $vgpr78
                                        ; implicit-def: $vgpr82
                                        ; implicit-def: $vgpr70
                                        ; implicit-def: $vgpr80
                                        ; implicit-def: $vgpr83
                                        ; implicit-def: $vgpr79
                                        ; implicit-def: $vgpr86
                                        ; implicit-def: $vgpr55
                                        ; implicit-def: $vgpr56
                                        ; implicit-def: $vgpr59
                                        ; implicit-def: $vgpr60
                                        ; implicit-def: $vgpr63
                                        ; implicit-def: $vgpr64
                                        ; implicit-def: $vgpr75
                                        ; implicit-def: $vgpr77
                                        ; implicit-def: $vgpr88
                                        ; implicit-def: $vgpr89
	s_xor_b32 exec_lo, exec_lo, s1
	s_cbranch_execz .LBB0_12
; %bb.11:
	s_add_u32 s6, s16, s6
	s_addc_u32 s7, s17, s7
	v_mul_u32_u24_e32 v2, 17, v10
	s_load_dwordx2 s[6:7], s[6:7], 0x0
	v_sub_nc_u32_e32 v28, v0, v2
	v_lshlrev_b64 v[2:3], 2, v[3:4]
	v_mad_u64_u32 v[5:6], null, s20, v28, 0
	v_add_nc_u32_e32 v16, 0x55, v28
	v_add_nc_u32_e32 v24, 0xaa, v28
	;; [unrolled: 1-line block ×5, first 2 shown]
	v_mad_u64_u32 v[7:8], null, s20, v16, 0
	v_mov_b32_e32 v0, v6
	v_mad_u64_u32 v[9:10], null, s20, v24, 0
	s_waitcnt lgkmcnt(0)
	v_mul_lo_u32 v6, s7, v22
	v_mul_lo_u32 v17, s6, v23
	v_mad_u64_u32 v[11:12], null, s6, v22, 0
	v_mad_u64_u32 v[13:14], null, s21, v28, v[0:1]
	v_mov_b32_e32 v0, v8
	v_mov_b32_e32 v4, v10
	v_mad_u64_u32 v[14:15], null, s20, v25, 0
	v_add3_u32 v12, v12, v17, v6
	v_mad_u64_u32 v[16:17], null, s21, v16, v[0:1]
	v_mov_b32_e32 v6, v13
	v_mad_u64_u32 v[18:19], null, s20, v26, 0
	v_lshlrev_b64 v[10:11], 2, v[11:12]
	v_mad_u64_u32 v[12:13], null, s21, v24, v[4:5]
	v_mov_b32_e32 v8, v16
	v_lshlrev_b64 v[5:6], 2, v[5:6]
	v_mov_b32_e32 v4, v15
	v_add_co_u32 v0, s0, s8, v10
	v_add_co_ci_u32_e64 v11, s0, s9, v11, s0
	v_lshlrev_b64 v[7:8], 2, v[7:8]
	v_add_co_u32 v0, s0, v0, v2
	v_add_co_ci_u32_e64 v17, s0, v11, v3, s0
	v_mov_b32_e32 v10, v12
	v_add_co_u32 v2, s0, v0, v5
	v_add_co_ci_u32_e64 v3, s0, v17, v6, s0
	v_mad_u64_u32 v[11:12], null, s21, v25, v[4:5]
	v_add_co_u32 v4, s0, v0, v7
	v_add_co_ci_u32_e64 v5, s0, v17, v8, s0
	v_add_nc_u32_e32 v16, 0x1a9, v28
	v_mov_b32_e32 v8, v19
	v_lshlrev_b64 v[6:7], 2, v[9:10]
	v_mov_b32_e32 v15, v11
	v_add_nc_u32_e32 v30, 0x66, v28
	v_mad_u64_u32 v[12:13], null, s20, v16, 0
	v_mad_u64_u32 v[8:9], null, s21, v26, v[8:9]
	v_lshlrev_b64 v[9:10], 2, v[14:15]
	v_add_nc_u32_e32 v26, 0x1fe, v28
	v_add_co_u32 v6, s0, v0, v6
	v_mov_b32_e32 v11, v13
	v_add_co_ci_u32_e64 v7, s0, v17, v7, s0
	v_mov_b32_e32 v19, v8
	v_add_co_u32 v8, s0, v0, v9
	v_mad_u64_u32 v[14:15], null, s20, v26, 0
	v_mad_u64_u32 v[24:25], null, s21, v16, v[11:12]
	v_add_co_ci_u32_e64 v9, s0, v17, v10, s0
	v_lshlrev_b64 v[10:11], 2, v[18:19]
	v_mad_u64_u32 v[18:19], null, s20, v29, 0
	v_mad_u64_u32 v[15:16], null, s21, v26, v[15:16]
	v_mov_b32_e32 v13, v24
	v_mad_u64_u32 v[24:25], null, s20, v30, 0
	v_add_nc_u32_e32 v33, 0xbb, v28
	v_mov_b32_e32 v16, v19
	v_lshlrev_b64 v[12:13], 2, v[12:13]
	v_add_co_u32 v10, s0, v0, v10
	v_lshlrev_b64 v[14:15], 2, v[14:15]
	v_mad_u64_u32 v[26:27], null, s21, v29, v[16:17]
	v_mov_b32_e32 v16, v25
	v_add_co_ci_u32_e64 v11, s0, v17, v11, s0
	v_add_co_u32 v12, s0, v0, v12
	v_mad_u64_u32 v[30:31], null, s21, v30, v[16:17]
	v_mov_b32_e32 v19, v26
	v_mad_u64_u32 v[26:27], null, s20, v33, 0
	v_add_nc_u32_e32 v36, 0x110, v28
	v_add_co_ci_u32_e64 v13, s0, v17, v13, s0
	v_add_co_u32 v31, s0, v0, v14
	v_add_co_ci_u32_e64 v32, s0, v17, v15, s0
	v_mov_b32_e32 v16, v27
	v_lshlrev_b64 v[14:15], 2, v[18:19]
	v_mad_u64_u32 v[18:19], null, s20, v36, 0
	v_mov_b32_e32 v25, v30
	v_mad_u64_u32 v[33:34], null, s21, v33, v[16:17]
	v_add_nc_u32_e32 v30, 0x165, v28
	v_add_co_u32 v34, s0, v0, v14
	v_add_co_ci_u32_e64 v35, s0, v17, v15, s0
	v_lshlrev_b64 v[14:15], 2, v[24:25]
	v_mov_b32_e32 v16, v19
	v_mad_u64_u32 v[24:25], null, s20, v30, 0
	v_mov_b32_e32 v27, v33
	v_add_nc_u32_e32 v33, 0x1ba, v28
	v_mad_u64_u32 v[36:37], null, s21, v36, v[16:17]
	v_add_co_u32 v37, s0, v0, v14
	v_add_co_ci_u32_e64 v38, s0, v17, v15, s0
	v_lshlrev_b64 v[14:15], 2, v[26:27]
	v_mov_b32_e32 v16, v25
	v_mad_u64_u32 v[26:27], null, s20, v33, 0
	v_mov_b32_e32 v19, v36
	v_add_nc_u32_e32 v36, 0x176, v28
	v_mad_u64_u32 v[39:40], null, s21, v30, v[16:17]
	v_add_co_u32 v40, s0, v0, v14
	v_add_nc_u32_e32 v30, 0x20f, v28
	v_mov_b32_e32 v16, v27
	v_add_co_ci_u32_e64 v41, s0, v17, v15, s0
	v_lshlrev_b64 v[14:15], 2, v[18:19]
	v_mov_b32_e32 v25, v39
	v_mad_u64_u32 v[18:19], null, s20, v30, 0
	v_mad_u64_u32 v[42:43], null, s21, v33, v[16:17]
	v_add_co_u32 v43, s0, v0, v14
	v_add_co_ci_u32_e64 v44, s0, v17, v15, s0
	v_lshlrev_b64 v[15:16], 2, v[24:25]
	v_add_nc_u32_e32 v14, 34, v28
	v_mov_b32_e32 v27, v42
	v_mad_u64_u32 v[45:46], null, s21, v30, v[19:20]
	v_add_nc_u32_e32 v30, 0x77, v28
	v_add_co_u32 v46, s0, v0, v15
	v_mad_u64_u32 v[24:25], null, s20, v14, 0
	v_add_co_ci_u32_e64 v47, s0, v17, v16, s0
	v_lshlrev_b64 v[15:16], 2, v[26:27]
	v_mad_u64_u32 v[26:27], null, s20, v30, 0
	v_add_nc_u32_e32 v33, 0xcc, v28
	v_mad_u64_u32 v[55:56], null, s20, v36, 0
	v_mov_b32_e32 v19, v45
	v_add_nc_u32_e32 v39, 0x132, v28
	v_mad_u64_u32 v[51:52], null, s20, v33, 0
	v_mad_u64_u32 v[48:49], null, s21, v14, v[25:26]
	v_add_co_u32 v49, s0, v0, v15
	v_mov_b32_e32 v15, v27
	v_add_co_ci_u32_e64 v50, s0, v17, v16, s0
	v_lshlrev_b64 v[18:19], 2, v[18:19]
	v_mov_b32_e32 v25, v48
	v_mad_u64_u32 v[15:16], null, s21, v30, v[15:16]
	v_add_nc_u32_e32 v30, 0x121, v28
	v_mov_b32_e32 v16, v52
	v_lshlrev_b64 v[24:25], 2, v[24:25]
	v_add_co_u32 v18, s0, v0, v18
	v_mad_u64_u32 v[53:54], null, s20, v30, 0
	v_mov_b32_e32 v27, v15
	v_mad_u64_u32 v[15:16], null, s21, v33, v[16:17]
	v_add_nc_u32_e32 v33, 0x1cb, v28
	v_add_co_ci_u32_e64 v19, s0, v17, v19, s0
	v_mov_b32_e32 v16, v54
	v_lshlrev_b64 v[26:27], 2, v[26:27]
	v_add_co_u32 v24, s0, v0, v24
	v_mov_b32_e32 v52, v15
	v_mov_b32_e32 v15, v56
	v_mad_u64_u32 v[56:57], null, s21, v30, v[16:17]
	v_mad_u64_u32 v[57:58], null, s20, v33, 0
	;; [unrolled: 1-line block ×3, first 2 shown]
	v_or_b32_e32 v36, 0x220, v28
	v_lshlrev_b64 v[51:52], 2, v[51:52]
	v_mov_b32_e32 v54, v56
	v_add_co_ci_u32_e64 v25, s0, v17, v25, s0
	v_mov_b32_e32 v16, v58
	v_mov_b32_e32 v56, v15
	v_add_nc_u32_e32 v15, 51, v28
	v_add_co_u32 v26, s0, v0, v26
	v_mad_u64_u32 v[58:59], null, s21, v33, v[16:17]
	v_mad_u64_u32 v[59:60], null, s20, v36, 0
	v_mad_u64_u32 v[61:62], null, s20, v15, 0
	v_lshlrev_b64 v[53:54], 2, v[53:54]
	v_add_co_ci_u32_e64 v27, s0, v17, v27, s0
	v_add_co_u32 v51, s0, v0, v51
	v_mov_b32_e32 v16, v60
	v_mov_b32_e32 v30, v62
	v_lshlrev_b64 v[55:56], 2, v[55:56]
	v_add_nc_u32_e32 v33, 0x88, v28
	v_add_co_ci_u32_e64 v52, s0, v17, v52, s0
	v_mad_u64_u32 v[62:63], null, s21, v36, v[16:17]
	v_mad_u64_u32 v[63:64], null, s21, v15, v[30:31]
	v_add_nc_u32_e32 v36, 0xdd, v28
	v_add_co_u32 v53, s0, v0, v53
	v_lshlrev_b64 v[57:58], 2, v[57:58]
	v_add_co_ci_u32_e64 v54, s0, v17, v54, s0
	v_add_co_u32 v55, s0, v0, v55
	v_mov_b32_e32 v60, v62
	v_mov_b32_e32 v62, v63
	v_mad_u64_u32 v[67:68], null, s20, v33, 0
	v_mad_u64_u32 v[74:75], null, s20, v36, 0
	v_add_nc_u32_e32 v42, 0x187, v28
	v_add_co_ci_u32_e64 v56, s0, v17, v56, s0
	v_add_co_u32 v63, s0, v0, v57
	v_add_co_ci_u32_e64 v64, s0, v17, v58, s0
	v_lshlrev_b64 v[57:58], 2, v[59:60]
	v_lshlrev_b64 v[59:60], 2, v[61:62]
	v_mad_u64_u32 v[61:62], null, s20, v39, 0
	v_mad_u64_u32 v[65:66], null, s20, v42, 0
	v_mov_b32_e32 v16, v68
	v_mov_b32_e32 v30, v75
	v_add_co_u32 v76, s0, v0, v57
	v_add_co_ci_u32_e64 v77, s0, v17, v58, s0
	v_mad_u64_u32 v[57:58], null, s21, v33, v[16:17]
	v_mov_b32_e32 v16, v62
	v_mad_u64_u32 v[69:70], null, s21, v36, v[30:31]
	v_mov_b32_e32 v30, v66
	v_add_nc_u32_e32 v33, 0x1dc, v28
	v_mad_u64_u32 v[70:71], null, s21, v39, v[16:17]
	v_add_nc_u32_e32 v36, 0x231, v28
	v_mad_u64_u32 v[71:72], null, s21, v42, v[30:31]
	v_mad_u64_u32 v[72:73], null, s20, v33, 0
	v_mov_b32_e32 v68, v57
	v_mov_b32_e32 v62, v70
	;; [unrolled: 1-line block ×3, first 2 shown]
	v_mad_u64_u32 v[69:70], null, s20, v36, 0
	v_add_co_u32 v59, s0, v0, v59
	v_mov_b32_e32 v16, v73
	v_lshlrev_b64 v[57:58], 2, v[61:62]
	v_mov_b32_e32 v66, v71
	v_add_co_ci_u32_e64 v60, s0, v17, v60, s0
	v_mad_u64_u32 v[61:62], null, s21, v33, v[16:17]
	v_add_nc_u32_e32 v16, 0x44, v28
	v_mov_b32_e32 v30, v70
	v_add_co_u32 v80, s0, v0, v57
	v_add_co_ci_u32_e64 v81, s0, v17, v58, s0
	v_mov_b32_e32 v73, v61
	v_mad_u64_u32 v[61:62], null, s20, v16, 0
	v_lshlrev_b64 v[57:58], 2, v[65:66]
	v_mad_u64_u32 v[65:66], null, s21, v36, v[30:31]
	v_add_nc_u32_e32 v39, 0x99, v28
	v_add_nc_u32_e32 v36, 0xee, v28
	;; [unrolled: 1-line block ×3, first 2 shown]
	v_mov_b32_e32 v30, v62
	v_add_co_u32 v82, s0, v0, v57
	v_mad_u64_u32 v[78:79], null, s20, v39, 0
	v_mov_b32_e32 v70, v65
	v_mad_u64_u32 v[65:66], null, s21, v16, v[30:31]
	v_add_co_ci_u32_e64 v83, s0, v17, v58, s0
	v_lshlrev_b64 v[57:58], 2, v[72:73]
	v_mov_b32_e32 v33, v79
	v_lshlrev_b64 v[69:70], 2, v[69:70]
	v_mov_b32_e32 v62, v65
	v_add_co_u32 v84, s0, v0, v57
	v_mad_u64_u32 v[71:72], null, s21, v39, v[33:34]
	v_add_co_ci_u32_e64 v85, s0, v17, v58, s0
	v_add_nc_u32_e32 v39, 0x143, v28
	v_lshlrev_b64 v[57:58], 2, v[61:62]
	v_mad_u64_u32 v[61:62], null, s20, v36, 0
	v_add_co_u32 v86, s0, v0, v69
	v_mad_u64_u32 v[65:66], null, s20, v39, 0
	v_add_co_ci_u32_e64 v87, s0, v17, v70, s0
	v_mov_b32_e32 v30, v62
	v_add_co_u32 v88, s0, v0, v57
	v_mov_b32_e32 v79, v71
	v_add_co_ci_u32_e64 v89, s0, v17, v58, s0
	v_mad_u64_u32 v[57:58], null, s20, v42, 0
	v_mov_b32_e32 v33, v66
	v_mad_u64_u32 v[71:72], null, s21, v36, v[30:31]
	v_add_nc_u32_e32 v36, 0x1ed, v28
	v_lshlrev_b64 v[69:70], 2, v[78:79]
	v_mad_u64_u32 v[72:73], null, s21, v39, v[33:34]
	v_mov_b32_e32 v30, v58
	v_mad_u64_u32 v[78:79], null, s20, v36, 0
	v_add_nc_u32_e32 v33, 0x242, v28
	v_mov_b32_e32 v62, v71
	v_add_co_u32 v90, s0, v0, v69
	v_add_co_ci_u32_e64 v91, s0, v17, v70, s0
	v_mov_b32_e32 v66, v72
	v_mad_u64_u32 v[69:70], null, s21, v42, v[30:31]
	v_mov_b32_e32 v30, v79
	v_mad_u64_u32 v[92:93], null, s20, v33, 0
	v_lshlrev_b64 v[61:62], 2, v[61:62]
	v_lshlrev_b64 v[65:66], 2, v[65:66]
	v_mad_u64_u32 v[70:71], null, s21, v36, v[30:31]
	v_mov_b32_e32 v58, v69
	v_add_co_u32 v94, s0, v0, v61
	v_mov_b32_e32 v30, v93
	v_add_co_ci_u32_e64 v95, s0, v17, v62, s0
	v_add_co_u32 v96, s0, v0, v65
	v_mov_b32_e32 v79, v70
	v_add_co_ci_u32_e64 v97, s0, v17, v66, s0
	v_mad_u64_u32 v[65:66], null, s21, v33, v[30:31]
	v_lshlrev_b64 v[57:58], 2, v[57:58]
	v_lshlrev_b64 v[61:62], 2, v[78:79]
	v_add_co_u32 v98, s0, v0, v57
	v_mov_b32_e32 v93, v65
	v_add_co_ci_u32_e64 v99, s0, v17, v58, s0
	v_add_co_u32 v100, s0, v0, v61
	v_add_co_ci_u32_e64 v101, s0, v17, v62, s0
	s_clause 0x12
	global_load_dword v61, v[2:3], off
	global_load_dword v62, v[4:5], off
	;; [unrolled: 1-line block ×19, first 2 shown]
	v_lshlrev_b64 v[2:3], 2, v[92:93]
	v_lshlrev_b64 v[10:11], 2, v[67:68]
	;; [unrolled: 1-line block ×3, first 2 shown]
	s_clause 0x1
	global_load_dword v5, v[98:99], off
	global_load_dword v36, v[100:101], off
	v_add_co_u32 v18, s0, v0, v2
	v_add_co_ci_u32_e64 v19, s0, v17, v3, s0
	v_add_co_u32 v3, s0, v0, v10
	v_add_co_ci_u32_e64 v4, s0, v17, v11, s0
	v_add_co_u32 v10, s0, v0, v12
	s_clause 0x8
	global_load_dword v37, v[80:81], off
	global_load_dword v6, v[82:83], off
	;; [unrolled: 1-line block ×9, first 2 shown]
	v_add_co_ci_u32_e64 v11, s0, v17, v13, s0
	s_clause 0x4
	global_load_dword v57, v[24:25], off
	global_load_dword v76, v[26:27], off
	;; [unrolled: 1-line block ×5, first 2 shown]
	s_waitcnt vmcnt(29)
	v_lshrrev_b32_e32 v84, 16, v33
	v_perm_b32 v88, v33, v30, 0x5040100
	s_waitcnt vmcnt(28)
	v_perm_b32 v89, v73, v30, 0x7060302
	s_waitcnt vmcnt(22)
	v_lshrrev_b32_e32 v86, 16, v32
	v_perm_b32 v75, v32, v31, 0x5040100
	s_waitcnt vmcnt(21)
	v_perm_b32 v77, v79, v31, 0x7060302
	;; [unrolled: 5-line block ×3, first 2 shown]
	s_waitcnt vmcnt(14)
	v_lshrrev_b32_e32 v70, 16, v36
	s_waitcnt vmcnt(11)
	v_lshrrev_b32_e32 v83, 16, v38
	v_perm_b32 v59, v38, v37, 0x5040100
	s_waitcnt vmcnt(10)
	v_perm_b32 v60, v80, v37, 0x7060302
	s_waitcnt vmcnt(6)
	;; [unrolled: 2-line block ×3, first 2 shown]
	v_perm_b32 v56, v82, v39, 0x7060302
.LBB0_12:
	s_or_b32 exec_lo, exec_lo, s1
	v_mul_hi_u32 v0, 0xaaaaaaab, v1
	v_perm_b32 v92, v69, v9, 0x5040100
	v_add_f16_e32 v3, v73, v62
	v_perm_b32 v93, v62, v9, 0x7060302
	v_sub_f16_sdwa v4, v69, v84 dst_sel:DWORD dst_unused:UNUSED_PAD src0_sel:WORD_1 src1_sel:DWORD
	v_add_f16_e32 v11, v79, v66
	v_pk_add_f16 v9, v88, v92
	v_perm_b32 v94, v66, v8, 0x7060302
	v_lshrrev_b32_e32 v0, 1, v0
	v_pk_add_f16 v10, v93, v89 neg_lo:[0,1] neg_hi:[0,1]
	v_sub_f16_sdwa v12, v71, v86 dst_sel:DWORD dst_unused:UNUSED_PAD src0_sel:WORD_1 src1_sel:DWORD
	v_alignbit_b32 v19, v3, v9, 16
	v_add_f16_sdwa v24, v3, v9 dst_sel:DWORD dst_unused:UNUSED_PAD src0_sel:DWORD src1_sel:WORD_1
	v_lshl_add_u32 v0, v0, 1, v0
	v_sub_f16_e32 v3, v3, v9
	v_pack_b32_f16 v25, v4, v10
	v_pk_add_f16 v19, v9, v19 neg_lo:[0,1] neg_hi:[0,1]
	v_add_f16_e32 v9, v24, v9
	v_sub_nc_u32_e32 v0, v1, v0
	v_add_f16_e32 v1, v4, v10
	v_mul_f16_e32 v24, 0xba52, v3
	v_pk_mul_f16 v26, 0x39e02b26, v19
	v_sub_f16_sdwa v4, v4, v10 dst_sel:DWORD dst_unused:UNUSED_PAD src0_sel:DWORD src1_sel:WORD_1
	v_mul_u32_u24_e32 v0, 0x253, v0
	v_add_f16_sdwa v1, v10, v1 dst_sel:DWORD dst_unused:UNUSED_PAD src0_sel:WORD_1 src1_sel:DWORD
	v_pk_add_f16 v10, v10, v25 neg_lo:[0,1] neg_hi:[0,1]
	v_add_f16_e32 v25, v9, v61
	v_alignbit_b32 v24, v24, v26, 16
	v_mul_f16_e32 v4, 0x3b00, v4
	v_mul_f16_e32 v27, 0x370e, v1
	v_pk_mul_f16 v30, 0x3574b846, v10
	v_fmamk_f16 v9, v9, 0xbcab, v25
	v_pk_fma_f16 v19, 0x39e02b26, v19, v24 neg_lo:[0,1,0] neg_hi:[0,1,0]
	v_pk_fma_f16 v4, 0x3574b846, v10, v4 op_sel_hi:[1,1,0] neg_lo:[0,1,0] neg_hi:[0,1,1]
	v_fmamk_f16 v3, v3, 0x3a52, v26
	v_add_f16_sdwa v24, v30, v30 dst_sel:DWORD dst_unused:UNUSED_PAD src0_sel:WORD_1 src1_sel:DWORD
	v_lshlrev_b32_e32 v0, 1, v0
	v_pk_add_f16 v10, v19, v9 op_sel_hi:[1,0]
	v_pk_add_f16 v4, v4, v27 op_sel_hi:[1,0]
	v_add_f16_e32 v3, v3, v9
	v_fmac_f16_e32 v24, 0x370e, v1
	v_add_nc_u32_e32 v54, 0, v0
	v_perm_b32 v1, v71, v8, 0x5040100
	v_pk_add_f16 v9, v10, v4
	v_pk_add_f16 v4, v10, v4 neg_lo:[0,1] neg_hi:[0,1]
	v_add_f16_e32 v27, v3, v24
	v_mad_u32_u24 v67, v28, 14, v54
	v_sub_f16_e32 v3, v3, v24
	v_perm_b32 v95, v72, v7, 0x5040100
	v_bfi_b32 v10, 0xffff, v9, v4
	v_alignbit_b32 v9, v4, v9, 16
	v_pack_b32_f16 v8, v25, v27
	v_pk_add_f16 v4, v75, v1
	v_pk_add_f16 v25, v94, v77 neg_lo:[0,1] neg_hi:[0,1]
	ds_write_b16 v67, v3 offset:12
	s_waitcnt vmcnt(3)
	v_add_f16_e32 v13, v78, v76
	ds_write_b96 v67, v[8:10]
	v_alignbit_b32 v8, v11, v4, 16
	v_add_f16_sdwa v3, v11, v4 dst_sel:DWORD dst_unused:UNUSED_PAD src0_sel:DWORD src1_sel:WORD_1
	v_pack_b32_f16 v9, v12, v25
	v_sub_f16_e32 v10, v11, v4
	v_add_f16_e32 v11, v12, v25
	v_pk_add_f16 v8, v4, v8 neg_lo:[0,1] neg_hi:[0,1]
	v_add_f16_e32 v3, v3, v4
	v_pk_add_f16 v4, v25, v9 neg_lo:[0,1] neg_hi:[0,1]
	v_mul_f16_e32 v9, 0xba52, v10
	v_sub_f16_sdwa v12, v12, v25 dst_sel:DWORD dst_unused:UNUSED_PAD src0_sel:DWORD src1_sel:WORD_1
	v_pk_mul_f16 v27, 0x39e02b26, v8
	v_add_f16_e32 v30, v3, v58
	v_add_f16_sdwa v11, v25, v11 dst_sel:DWORD dst_unused:UNUSED_PAD src0_sel:WORD_1 src1_sel:DWORD
	v_pk_mul_f16 v25, 0x3574b846, v4
	v_mul_f16_e32 v12, 0x3b00, v12
	v_alignbit_b32 v9, v9, v27, 16
	v_fmamk_f16 v3, v3, 0xbcab, v30
	v_fmamk_f16 v10, v10, 0x3a52, v27
	v_mul_f16_e32 v27, 0x370e, v11
	v_pk_fma_f16 v4, 0x3574b846, v4, v12 op_sel_hi:[1,1,0] neg_lo:[0,1,0] neg_hi:[0,1,1]
	v_pk_fma_f16 v8, 0x39e02b26, v8, v9 neg_lo:[0,1,0] neg_hi:[0,1,0]
	v_add_f16_sdwa v9, v25, v25 dst_sel:DWORD dst_unused:UNUSED_PAD src0_sel:WORD_1 src1_sel:DWORD
	v_add_f16_e32 v10, v10, v3
	v_perm_b32 v99, v76, v7, 0x7060302
	v_pk_add_f16 v4, v4, v27 op_sel_hi:[1,0]
	v_pk_add_f16 v3, v8, v3 op_sel_hi:[1,0]
	v_pk_add_f16 v8, v63, v95
	v_sub_f16_sdwa v17, v72, v85 dst_sel:DWORD dst_unused:UNUSED_PAD src0_sel:WORD_1 src1_sel:DWORD
	v_fmac_f16_e32 v9, 0x370e, v11
	v_pk_add_f16 v12, v99, v64 neg_lo:[0,1] neg_hi:[0,1]
	v_pk_add_f16 v11, v3, v4
	v_pk_add_f16 v3, v3, v4 neg_lo:[0,1] neg_hi:[0,1]
	v_alignbit_b32 v4, v13, v8, 16
	v_add_f16_e32 v7, v10, v9
	v_sub_f16_e32 v10, v10, v9
	v_add_f16_sdwa v9, v13, v8 dst_sel:DWORD dst_unused:UNUSED_PAD src0_sel:DWORD src1_sel:WORD_1
	v_sub_f16_e32 v13, v13, v8
	v_pk_add_f16 v4, v8, v4 neg_lo:[0,1] neg_hi:[0,1]
	v_add_f16_e32 v25, v17, v12
	v_pack_b32_f16 v27, v17, v12
	v_add_f16_e32 v8, v9, v8
	v_mul_f16_e32 v9, 0xba52, v13
	v_pk_mul_f16 v31, 0x39e02b26, v4
	v_sub_f16_sdwa v17, v17, v12 dst_sel:DWORD dst_unused:UNUSED_PAD src0_sel:DWORD src1_sel:WORD_1
	v_add_f16_sdwa v25, v12, v25 dst_sel:DWORD dst_unused:UNUSED_PAD src0_sel:WORD_1 src1_sel:DWORD
	v_pk_add_f16 v12, v12, v27 neg_lo:[0,1] neg_hi:[0,1]
	v_add_f16_e32 v27, v8, v57
	v_alignbit_b32 v9, v9, v31, 16
	v_mul_f16_e32 v17, 0x3b00, v17
	v_mul_f16_e32 v32, 0x370e, v25
	v_pk_mul_f16 v33, 0x3574b846, v12
	v_fmamk_f16 v34, v8, 0xbcab, v27
	v_pk_fma_f16 v4, 0x39e02b26, v4, v9 neg_lo:[0,1,0] neg_hi:[0,1,0]
	v_pk_fma_f16 v8, 0x3574b846, v12, v17 op_sel_hi:[1,1,0] neg_lo:[0,1,0] neg_hi:[0,1,1]
	v_fmamk_f16 v12, v13, 0x3a52, v31
	v_add_f16_sdwa v13, v33, v33 dst_sel:DWORD dst_unused:UNUSED_PAD src0_sel:WORD_1 src1_sel:DWORD
	v_mad_i32_i24 v87, v29, 14, v54
	v_bfi_b32 v9, 0xffff, v11, v3
	v_pk_add_f16 v4, v4, v34 op_sel_hi:[1,0]
	v_pk_add_f16 v17, v8, v32 op_sel_hi:[1,0]
	v_alignbit_b32 v8, v3, v11, 16
	v_pack_b32_f16 v7, v30, v7
	v_add_f16_e32 v3, v12, v34
	v_fmac_f16_e32 v13, 0x370e, v25
	v_pk_add_f16 v11, v4, v17
	v_pk_add_f16 v4, v4, v17 neg_lo:[0,1] neg_hi:[0,1]
	ds_write_b96 v87, v[7:9]
	s_waitcnt vmcnt(0)
	v_perm_b32 v100, v81, v6, 0x5040100
	v_add_f16_e32 v9, v3, v13
	v_add_f16_e32 v18, v80, v74
	v_mad_i32_i24 v90, v14, 14, v54
	v_bfi_b32 v8, 0xffff, v11, v4
	v_alignbit_b32 v7, v4, v11, 16
	v_perm_b32 v101, v74, v6, 0x7060302
	v_pack_b32_f16 v6, v27, v9
	v_pk_add_f16 v4, v59, v100
	v_sub_f16_sdwa v19, v81, v83 dst_sel:DWORD dst_unused:UNUSED_PAD src0_sel:WORD_1 src1_sel:DWORD
	v_sub_f16_e32 v3, v3, v13
	ds_write_b16 v87, v10 offset:12
	v_pk_add_f16 v9, v101, v60 neg_lo:[0,1] neg_hi:[0,1]
	ds_write_b96 v90, v[6:8]
	v_alignbit_b32 v6, v18, v4, 16
	ds_write_b16 v90, v3 offset:12
	v_add_f16_sdwa v3, v18, v4 dst_sel:DWORD dst_unused:UNUSED_PAD src0_sel:DWORD src1_sel:WORD_1
	v_add_f16_e32 v7, v19, v9
	v_sub_f16_e32 v8, v18, v4
	v_pk_add_f16 v6, v4, v6 neg_lo:[0,1] neg_hi:[0,1]
	v_pack_b32_f16 v10, v19, v9
	v_add_f16_e32 v3, v3, v4
	v_add_f16_sdwa v4, v9, v7 dst_sel:DWORD dst_unused:UNUSED_PAD src0_sel:WORD_1 src1_sel:DWORD
	v_mul_f16_e32 v7, 0xba52, v8
	v_pk_mul_f16 v11, 0x39e02b26, v6
	v_pk_add_f16 v10, v9, v10 neg_lo:[0,1] neg_hi:[0,1]
	v_add_f16_e32 v12, v3, v40
	v_sub_f16_sdwa v9, v19, v9 dst_sel:DWORD dst_unused:UNUSED_PAD src0_sel:DWORD src1_sel:WORD_1
	v_perm_b32 v102, v65, v5, 0x5040100
	v_alignbit_b32 v7, v7, v11, 16
	v_fmamk_f16 v8, v8, 0x3a52, v11
	v_fmamk_f16 v3, v3, 0xbcab, v12
	v_add_f16_e32 v26, v82, v68
	v_pk_mul_f16 v17, 0x3574b846, v10
	v_pk_fma_f16 v6, 0x39e02b26, v6, v7 neg_lo:[0,1,0] neg_hi:[0,1,0]
	v_mul_f16_e32 v9, 0x3b00, v9
	v_add_f16_e32 v8, v8, v3
	v_perm_b32 v103, v68, v5, 0x7060302
	v_sub_f16_sdwa v24, v65, v70 dst_sel:DWORD dst_unused:UNUSED_PAD src0_sel:WORD_1 src1_sel:DWORD
	v_pk_add_f16 v3, v6, v3 op_sel_hi:[1,0]
	v_pk_add_f16 v6, v55, v102
	v_mul_f16_e32 v13, 0x370e, v4
	v_add_f16_sdwa v7, v17, v17 dst_sel:DWORD dst_unused:UNUSED_PAD src0_sel:WORD_1 src1_sel:DWORD
	v_pk_fma_f16 v9, 0x3574b846, v10, v9 op_sel_hi:[1,1,0] neg_lo:[0,1,0] neg_hi:[0,1,1]
	v_pk_add_f16 v10, v103, v56 neg_lo:[0,1] neg_hi:[0,1]
	v_alignbit_b32 v5, v26, v6, 16
	v_sub_f16_e32 v17, v26, v6
	v_fmac_f16_e32 v7, 0x370e, v4
	v_pk_add_f16 v4, v9, v13 op_sel_hi:[1,0]
	v_add_f16_sdwa v13, v26, v6 dst_sel:DWORD dst_unused:UNUSED_PAD src0_sel:DWORD src1_sel:WORD_1
	v_pk_add_f16 v5, v6, v5 neg_lo:[0,1] neg_hi:[0,1]
	v_add_f16_e32 v18, v24, v10
	v_pack_b32_f16 v19, v24, v10
	v_mul_f16_e32 v25, 0xba52, v17
	v_add_f16_e32 v6, v13, v6
	v_pk_mul_f16 v13, 0x39e02b26, v5
	v_sub_f16_sdwa v24, v24, v10 dst_sel:DWORD dst_unused:UNUSED_PAD src0_sel:DWORD src1_sel:WORD_1
	v_add_f16_sdwa v18, v10, v18 dst_sel:DWORD dst_unused:UNUSED_PAD src0_sel:WORD_1 src1_sel:DWORD
	v_pk_add_f16 v10, v10, v19 neg_lo:[0,1] neg_hi:[0,1]
	v_add_f16_e32 v19, v6, v2
	v_alignbit_b32 v25, v25, v13, 16
	v_mul_f16_e32 v24, 0x3b00, v24
	v_pk_add_f16 v11, v3, v4
	v_pk_mul_f16 v27, 0x3574b846, v10
	v_mul_f16_e32 v26, 0x370e, v18
	v_fmamk_f16 v6, v6, 0xbcab, v19
	v_pk_fma_f16 v5, 0x39e02b26, v5, v25 neg_lo:[0,1,0] neg_hi:[0,1,0]
	v_pk_fma_f16 v10, 0x3574b846, v10, v24 op_sel_hi:[1,1,0] neg_lo:[0,1,0] neg_hi:[0,1,1]
	v_pk_add_f16 v3, v3, v4 neg_lo:[0,1] neg_hi:[0,1]
	v_fmamk_f16 v4, v17, 0x3a52, v13
	v_add_f16_sdwa v13, v27, v27 dst_sel:DWORD dst_unused:UNUSED_PAD src0_sel:WORD_1 src1_sel:DWORD
	v_add_f16_e32 v9, v8, v7
	v_pk_add_f16 v17, v5, v6 op_sel_hi:[1,0]
	v_pk_add_f16 v10, v10, v26 op_sel_hi:[1,0]
	v_add_f16_e32 v25, v4, v6
	v_fmac_f16_e32 v13, 0x370e, v18
	v_bfi_b32 v5, 0xffff, v11, v3
	v_alignbit_b32 v4, v3, v11, 16
	v_pack_b32_f16 v3, v12, v9
	v_lshlrev_b32_e32 v9, 1, v28
	v_sub_f16_e32 v24, v8, v7
	v_pk_add_f16 v6, v17, v10
	v_pk_add_f16 v7, v17, v10 neg_lo:[0,1] neg_hi:[0,1]
	v_add_f16_e32 v10, v25, v13
	v_mad_i32_i24 v91, v15, 14, v54
	v_add_nc_u32_e32 v31, v54, v9
	v_add3_u32 v30, 0, v9, v0
	v_mad_i32_i24 v98, v16, 14, v54
	v_bfi_b32 v8, 0xffff, v6, v7
	v_alignbit_b32 v7, v7, v6, 16
	v_pack_b32_f16 v6, v19, v10
	v_sub_f16_e32 v51, v25, v13
	s_load_dwordx2 s[4:5], s[4:5], 0x0
	ds_write_b96 v91, v[3:5]
	ds_write_b16 v91, v24 offset:12
	ds_write_b96 v98, v[6:8]
	ds_write_b16 v98, v51 offset:12
	s_waitcnt lgkmcnt(0)
	s_barrier
	buffer_gl0_inv
	ds_read_u16 v96, v31
	ds_read_u16 v48, v30 offset:70
	ds_read_u16 v4, v30 offset:104
	ds_read_u16 v43, v30 offset:140
	v_lshl_add_u32 v27, v29, 1, v54
	ds_read_u16 v50, v30 offset:280
	ds_read_u16 v10, v30 offset:244
	;; [unrolled: 1-line block ×28, first 2 shown]
	ds_read_u16 v97, v27
	ds_read_u16 v34, v30 offset:1154
	v_cmp_eq_u32_e64 s0, 0, v28
                                        ; implicit-def: $vgpr38
                                        ; implicit-def: $vgpr44
                                        ; implicit-def: $vgpr121
                                        ; implicit-def: $vgpr122
                                        ; implicit-def: $vgpr123
                                        ; implicit-def: $vgpr124
                                        ; implicit-def: $vgpr125
                                        ; implicit-def: $vgpr126
                                        ; implicit-def: $vgpr49
                                        ; implicit-def: $vgpr45
                                        ; implicit-def: $vgpr42
                                        ; implicit-def: $vgpr120
                                        ; implicit-def: $vgpr127
                                        ; implicit-def: $vgpr128
                                        ; implicit-def: $vgpr129
                                        ; implicit-def: $vgpr130
	s_and_saveexec_b32 s1, s0
	s_cbranch_execz .LBB0_14
; %bb.13:
	ds_read_u16 v51, v54 offset:68
	ds_read_u16 v38, v54 offset:138
	;; [unrolled: 1-line block ×17, first 2 shown]
.LBB0_14:
	s_or_b32 exec_lo, exec_lo, s1
	v_sub_f16_e32 v62, v62, v73
	v_add_f16_sdwa v69, v84, v69 dst_sel:DWORD dst_unused:UNUSED_PAD src0_sel:DWORD src1_sel:WORD_1
	v_sub_f16_e32 v73, v76, v78
	v_pk_add_f16 v76, v89, v93
	v_sub_f16_e32 v66, v66, v79
	v_sub_f16_e32 v74, v74, v80
	v_pk_add_f16 v79, v92, v88 neg_lo:[0,1] neg_hi:[0,1]
	v_add_f16_sdwa v78, v83, v81 dst_sel:DWORD dst_unused:UNUSED_PAD src0_sel:DWORD src1_sel:WORD_1
	v_add_f16_sdwa v80, v76, v69 dst_sel:DWORD dst_unused:UNUSED_PAD src0_sel:WORD_1 src1_sel:DWORD
	v_sub_f16_e32 v68, v68, v82
	v_sub_f16_sdwa v81, v69, v76 dst_sel:DWORD dst_unused:UNUSED_PAD src0_sel:DWORD src1_sel:WORD_1
	v_sub_f16_sdwa v82, v76, v76 dst_sel:DWORD dst_unused:UNUSED_PAD src0_sel:WORD_1 src1_sel:DWORD
	v_sub_f16_e32 v69, v76, v69
	v_add_f16_sdwa v83, v79, v79 dst_sel:DWORD dst_unused:UNUSED_PAD src0_sel:WORD_1 src1_sel:DWORD
	v_add_f16_e32 v76, v80, v76
	v_sub_f16_sdwa v80, v79, v79 dst_sel:DWORD dst_unused:UNUSED_PAD src0_sel:DWORD src1_sel:WORD_1
	v_sub_f16_e32 v84, v62, v79
	v_sub_f16_sdwa v79, v79, v62 dst_sel:DWORD dst_unused:UNUSED_PAD src0_sel:WORD_1 src1_sel:DWORD
	v_add_f16_e32 v62, v62, v83
	v_add_f16_sdwa v61, v76, v61 dst_sel:DWORD dst_unused:UNUSED_PAD src0_sel:DWORD src1_sel:WORD_1
	v_mul_f16_e32 v69, 0x2b26, v69
	v_mul_f16_e32 v83, 0x3a52, v82
	v_add_f16_sdwa v72, v85, v72 dst_sel:DWORD dst_unused:UNUSED_PAD src0_sel:DWORD src1_sel:WORD_1
	v_mul_f16_e32 v80, 0xb846, v80
	v_mul_f16_e32 v85, 0x3b00, v79
	v_fmamk_f16 v76, v76, 0xbcab, v61
	v_fmamk_f16 v82, v82, 0x3a52, v69
	v_fma_f16 v69, v81, 0x39e0, -v69
	v_fma_f16 v81, v81, 0xb9e0, -v83
	v_add_f16_sdwa v71, v86, v71 dst_sel:DWORD dst_unused:UNUSED_PAD src0_sel:DWORD src1_sel:WORD_1
	v_fmamk_f16 v83, v84, 0x3574, v80
	v_fma_f16 v84, v84, 0xb574, -v85
	v_fma_f16 v79, v79, 0x3b00, -v80
	v_add_f16_e32 v80, v82, v76
	v_add_f16_e32 v81, v81, v76
	;; [unrolled: 1-line block ×3, first 2 shown]
	v_pk_add_f16 v76, v77, v94
	v_fmac_f16_e32 v84, 0x370e, v62
	v_fmac_f16_e32 v79, 0x370e, v62
	v_pk_add_f16 v1, v1, v75 neg_lo:[0,1] neg_hi:[0,1]
	v_fmac_f16_e32 v83, 0x370e, v62
	v_add_f16_sdwa v75, v76, v71 dst_sel:DWORD dst_unused:UNUSED_PAD src0_sel:WORD_1 src1_sel:DWORD
	v_add_f16_sdwa v62, v70, v65 dst_sel:DWORD dst_unused:UNUSED_PAD src0_sel:DWORD src1_sel:WORD_1
	v_sub_f16_e32 v70, v81, v84
	v_add_f16_e32 v77, v79, v69
	v_sub_f16_e32 v69, v69, v79
	v_add_f16_e32 v79, v84, v81
	v_sub_f16_sdwa v81, v71, v76 dst_sel:DWORD dst_unused:UNUSED_PAD src0_sel:DWORD src1_sel:WORD_1
	v_sub_f16_sdwa v82, v76, v76 dst_sel:DWORD dst_unused:UNUSED_PAD src0_sel:WORD_1 src1_sel:DWORD
	v_sub_f16_e32 v71, v76, v71
	v_add_f16_e32 v75, v75, v76
	v_sub_f16_sdwa v76, v1, v1 dst_sel:DWORD dst_unused:UNUSED_PAD src0_sel:DWORD src1_sel:WORD_1
	v_add_f16_sdwa v84, v1, v1 dst_sel:DWORD dst_unused:UNUSED_PAD src0_sel:WORD_1 src1_sel:DWORD
	v_sub_f16_e32 v85, v66, v1
	v_sub_f16_sdwa v1, v1, v66 dst_sel:DWORD dst_unused:UNUSED_PAD src0_sel:WORD_1 src1_sel:DWORD
	v_add_f16_sdwa v58, v75, v58 dst_sel:DWORD dst_unused:UNUSED_PAD src0_sel:DWORD src1_sel:WORD_1
	v_mul_f16_e32 v71, 0x2b26, v71
	v_mul_f16_e32 v76, 0xb846, v76
	v_add_f16_e32 v66, v66, v84
	v_mul_f16_e32 v84, 0x3a52, v82
	v_mul_f16_e32 v86, 0x3b00, v1
	v_fmamk_f16 v75, v75, 0xbcab, v58
	v_fmamk_f16 v82, v82, 0x3a52, v71
	v_fma_f16 v71, v81, 0x39e0, -v71
	v_fma_f16 v1, v1, 0x3b00, -v76
	;; [unrolled: 1-line block ×3, first 2 shown]
	v_fmamk_f16 v84, v85, 0x3574, v76
	v_fma_f16 v85, v85, 0xb574, -v86
	v_add_f16_e32 v71, v71, v75
	v_fmac_f16_e32 v1, 0x370e, v66
	v_pk_add_f16 v64, v64, v99
	v_add_f16_e32 v76, v82, v75
	v_add_f16_e32 v81, v81, v75
	v_fmac_f16_e32 v85, 0x370e, v66
	v_add_f16_e32 v82, v1, v71
	v_sub_f16_e32 v71, v71, v1
	v_pk_add_f16 v1, v95, v63 neg_lo:[0,1] neg_hi:[0,1]
	v_add_f16_sdwa v63, v64, v72 dst_sel:DWORD dst_unused:UNUSED_PAD src0_sel:WORD_1 src1_sel:DWORD
	v_sub_f16_e32 v65, v80, v83
	v_fmac_f16_e32 v84, 0x370e, v66
	v_add_f16_e32 v66, v83, v80
	v_sub_f16_e32 v80, v81, v85
	v_add_f16_e32 v81, v85, v81
	v_sub_f16_sdwa v83, v72, v64 dst_sel:DWORD dst_unused:UNUSED_PAD src0_sel:DWORD src1_sel:WORD_1
	v_sub_f16_sdwa v85, v64, v64 dst_sel:DWORD dst_unused:UNUSED_PAD src0_sel:WORD_1 src1_sel:DWORD
	v_sub_f16_e32 v72, v64, v72
	v_add_f16_sdwa v86, v1, v1 dst_sel:DWORD dst_unused:UNUSED_PAD src0_sel:WORD_1 src1_sel:DWORD
	v_add_f16_e32 v63, v63, v64
	v_sub_f16_sdwa v64, v1, v1 dst_sel:DWORD dst_unused:UNUSED_PAD src0_sel:DWORD src1_sel:WORD_1
	v_sub_f16_e32 v88, v73, v1
	v_sub_f16_sdwa v1, v1, v73 dst_sel:DWORD dst_unused:UNUSED_PAD src0_sel:WORD_1 src1_sel:DWORD
	v_add_f16_e32 v73, v73, v86
	v_add_f16_sdwa v86, v63, v57 dst_sel:DWORD dst_unused:UNUSED_PAD src0_sel:DWORD src1_sel:WORD_1
	v_mul_f16_e32 v57, 0x2b26, v72
	v_mul_f16_e32 v64, 0xb846, v64
	v_mul_f16_e32 v72, 0x3a52, v85
	v_mul_f16_e32 v89, 0x3b00, v1
	v_fmamk_f16 v63, v63, 0xbcab, v86
	v_fmamk_f16 v85, v85, 0x3a52, v57
	v_fma_f16 v57, v83, 0x39e0, -v57
	v_fma_f16 v1, v1, 0x3b00, -v64
	;; [unrolled: 1-line block ×3, first 2 shown]
	v_fmamk_f16 v83, v88, 0x3574, v64
	v_fma_f16 v88, v88, 0xb574, -v89
	v_add_f16_e32 v57, v57, v63
	v_fmac_f16_e32 v1, 0x370e, v73
	v_pk_add_f16 v60, v60, v101
	v_sub_f16_e32 v75, v76, v84
	v_add_f16_e32 v64, v85, v63
	v_add_f16_e32 v72, v72, v63
	v_fmac_f16_e32 v88, 0x370e, v73
	v_add_f16_e32 v63, v84, v76
	v_add_f16_e32 v84, v1, v57
	v_sub_f16_e32 v85, v57, v1
	v_pk_add_f16 v1, v100, v59 neg_lo:[0,1] neg_hi:[0,1]
	v_add_f16_sdwa v57, v60, v78 dst_sel:DWORD dst_unused:UNUSED_PAD src0_sel:WORD_1 src1_sel:DWORD
	v_sub_f16_e32 v76, v72, v88
	v_add_f16_e32 v72, v88, v72
	v_sub_f16_sdwa v59, v78, v60 dst_sel:DWORD dst_unused:UNUSED_PAD src0_sel:DWORD src1_sel:WORD_1
	v_sub_f16_sdwa v88, v60, v60 dst_sel:DWORD dst_unused:UNUSED_PAD src0_sel:WORD_1 src1_sel:DWORD
	v_sub_f16_e32 v78, v60, v78
	v_add_f16_e32 v57, v57, v60
	v_sub_f16_sdwa v60, v1, v1 dst_sel:DWORD dst_unused:UNUSED_PAD src0_sel:DWORD src1_sel:WORD_1
	v_add_f16_sdwa v89, v1, v1 dst_sel:DWORD dst_unused:UNUSED_PAD src0_sel:WORD_1 src1_sel:DWORD
	v_sub_f16_e32 v92, v74, v1
	v_sub_f16_sdwa v1, v1, v74 dst_sel:DWORD dst_unused:UNUSED_PAD src0_sel:WORD_1 src1_sel:DWORD
	v_add_f16_sdwa v40, v57, v40 dst_sel:DWORD dst_unused:UNUSED_PAD src0_sel:DWORD src1_sel:WORD_1
	v_mul_f16_e32 v78, 0x2b26, v78
	v_mul_f16_e32 v60, 0xb846, v60
	v_add_f16_e32 v74, v74, v89
	v_mul_f16_e32 v89, 0x3a52, v88
	v_mul_f16_e32 v93, 0x3b00, v1
	v_fmamk_f16 v57, v57, 0xbcab, v40
	v_fmamk_f16 v88, v88, 0x3a52, v78
	v_fma_f16 v78, v59, 0x39e0, -v78
	v_fma_f16 v1, v1, 0x3b00, -v60
	v_pk_add_f16 v56, v56, v103
	v_fma_f16 v59, v59, 0xb9e0, -v89
	v_fmamk_f16 v89, v92, 0x3574, v60
	v_add_f16_e32 v78, v78, v57
	v_fmac_f16_e32 v1, 0x370e, v74
	v_fma_f16 v60, v92, 0xb574, -v93
	v_add_f16_e32 v88, v88, v57
	v_add_f16_e32 v57, v59, v57
	v_sub_f16_sdwa v59, v62, v56 dst_sel:DWORD dst_unused:UNUSED_PAD src0_sel:DWORD src1_sel:WORD_1
	v_add_f16_e32 v92, v1, v78
	v_sub_f16_e32 v78, v78, v1
	v_pk_add_f16 v1, v102, v55 neg_lo:[0,1] neg_hi:[0,1]
	v_add_f16_sdwa v55, v56, v62 dst_sel:DWORD dst_unused:UNUSED_PAD src0_sel:WORD_1 src1_sel:DWORD
	v_sub_f16_sdwa v93, v56, v56 dst_sel:DWORD dst_unused:UNUSED_PAD src0_sel:WORD_1 src1_sel:DWORD
	v_sub_f16_e32 v62, v56, v62
	v_fmac_f16_e32 v83, 0x370e, v73
	v_add_f16_sdwa v94, v1, v1 dst_sel:DWORD dst_unused:UNUSED_PAD src0_sel:WORD_1 src1_sel:DWORD
	v_add_f16_e32 v55, v55, v56
	v_sub_f16_sdwa v56, v1, v1 dst_sel:DWORD dst_unused:UNUSED_PAD src0_sel:DWORD src1_sel:WORD_1
	v_sub_f16_e32 v95, v68, v1
	v_sub_f16_sdwa v1, v1, v68 dst_sel:DWORD dst_unused:UNUSED_PAD src0_sel:WORD_1 src1_sel:DWORD
	v_add_f16_e32 v68, v68, v94
	v_add_f16_sdwa v2, v55, v2 dst_sel:DWORD dst_unused:UNUSED_PAD src0_sel:DWORD src1_sel:WORD_1
	v_mul_f16_e32 v62, 0x2b26, v62
	v_mul_f16_e32 v94, 0x3a52, v93
	;; [unrolled: 1-line block ×4, first 2 shown]
	v_fmamk_f16 v55, v55, 0xbcab, v2
	v_fmamk_f16 v93, v93, 0x3a52, v62
	v_fma_f16 v62, v59, 0x39e0, -v62
	v_fma_f16 v59, v59, 0xb9e0, -v94
	v_fmamk_f16 v94, v95, 0x3574, v56
	v_fma_f16 v1, v1, 0x3b00, -v56
	v_fma_f16 v56, v95, 0xb574, -v99
	v_fmac_f16_e32 v60, 0x370e, v74
	v_add_f16_e32 v93, v93, v55
	v_add_f16_e32 v62, v62, v55
	;; [unrolled: 1-line block ×3, first 2 shown]
	v_fmac_f16_e32 v56, 0x370e, v68
	v_fmac_f16_e32 v89, 0x370e, v74
	;; [unrolled: 1-line block ×4, first 2 shown]
	v_sub_f16_e32 v73, v64, v83
	v_add_f16_e32 v64, v83, v64
	v_sub_f16_e32 v83, v57, v60
	v_add_f16_e32 v68, v60, v57
	;; [unrolled: 2-line block ×3, first 2 shown]
	v_pack_b32_f16 v57, v69, v79
	v_pack_b32_f16 v56, v70, v77
	v_pack_b32_f16 v55, v61, v65
	v_sub_f16_e32 v74, v88, v89
	v_pack_b32_f16 v60, v71, v81
	v_pack_b32_f16 v59, v80, v82
	;; [unrolled: 1-line block ×3, first 2 shown]
	v_add_f16_e32 v88, v89, v88
	v_sub_f16_e32 v89, v93, v94
	v_add_f16_e32 v99, v1, v62
	v_sub_f16_e32 v62, v62, v1
	s_waitcnt lgkmcnt(0)
	s_barrier
	buffer_gl0_inv
	ds_write_b96 v67, v[55:57]
	ds_write_b16 v67, v66 offset:12
	ds_write_b96 v87, v[58:60]
	ds_write_b16 v87, v63 offset:12
	v_pack_b32_f16 v57, v85, v72
	v_pack_b32_f16 v56, v76, v84
	;; [unrolled: 1-line block ×9, first 2 shown]
	v_add_f16_e32 v1, v94, v93
	ds_write_b96 v90, v[55:57]
	ds_write_b16 v90, v64 offset:12
	ds_write_b96 v91, v[58:60]
	ds_write_b16 v91, v88 offset:12
	ds_write_b96 v98, v[61:63]
	ds_write_b16 v98, v1 offset:12
	s_waitcnt lgkmcnt(0)
	s_barrier
	buffer_gl0_inv
	ds_read_u16 v66, v31
	ds_read_u16 v65, v30 offset:70
	ds_read_u16 v67, v30 offset:104
	;; [unrolled: 1-line block ×31, first 2 shown]
	ds_read_u16 v40, v27
	ds_read_u16 v134, v30 offset:1154
                                        ; implicit-def: $vgpr136
                                        ; implicit-def: $vgpr137
                                        ; implicit-def: $vgpr138
                                        ; implicit-def: $vgpr139
                                        ; implicit-def: $vgpr140
                                        ; implicit-def: $vgpr141
                                        ; implicit-def: $vgpr142
                                        ; implicit-def: $vgpr143
                                        ; implicit-def: $vgpr131
                                        ; implicit-def: $vgpr132
                                        ; implicit-def: $vgpr133
                                        ; implicit-def: $vgpr135
                                        ; implicit-def: $vgpr144
                                        ; implicit-def: $vgpr145
                                        ; implicit-def: $vgpr147
                                        ; implicit-def: $vgpr148
	s_and_saveexec_b32 s1, s0
	s_cbranch_execz .LBB0_16
; %bb.15:
	ds_read_u16 v1, v54 offset:68
	ds_read_u16 v136, v54 offset:138
	;; [unrolled: 1-line block ×17, first 2 shown]
.LBB0_16:
	s_or_b32 exec_lo, exec_lo, s1
	v_and_b32_e32 v2, 0xff, v28
	v_mov_b32_e32 v71, 6
	v_mul_lo_u16 v2, v2, 37
	v_lshrrev_b16 v2, 8, v2
	v_sub_nc_u16 v54, v28, v2
	v_lshrrev_b16 v54, 1, v54
	v_and_b32_e32 v54, 0x7f, v54
	v_add_nc_u16 v2, v54, v2
	v_and_b32_e32 v54, 0xff, v29
	v_lshrrev_b16 v118, 2, v2
	v_mul_lo_u16 v2, v54, 37
	v_mul_lo_u16 v54, v118, 7
	v_lshrrev_b16 v2, 8, v2
	v_sub_nc_u16 v117, v28, v54
	v_sub_nc_u16 v54, v29, v2
	v_lshlrev_b32_sdwa v74, v71, v117 dst_sel:DWORD dst_unused:UNUSED_PAD src0_sel:DWORD src1_sel:BYTE_0
	v_lshrrev_b16 v54, 1, v54
	s_clause 0x1
	global_load_dwordx4 v[150:153], v74, s[12:13]
	global_load_dwordx4 v[154:157], v74, s[12:13] offset:16
	v_and_b32_e32 v54, 0x7f, v54
	s_clause 0x1
	global_load_dwordx4 v[158:161], v74, s[12:13] offset:32
	global_load_dwordx4 v[162:165], v74, s[12:13] offset:48
	v_add_nc_u16 v2, v54, v2
	v_and_b32_e32 v54, 0xff, v14
	v_lshrrev_b16 v116, 2, v2
	v_mul_lo_u16 v54, v54, 37
	v_mul_lo_u16 v2, v116, 7
	v_lshrrev_b16 v54, 8, v54
	v_and_b32_e32 v116, 0xffff, v116
	v_sub_nc_u16 v119, v29, v2
	v_sub_nc_u16 v74, v14, v54
	v_mad_u32_u24 v116, 0xee, v116, 0
	v_lshlrev_b32_sdwa v2, v71, v119 dst_sel:DWORD dst_unused:UNUSED_PAD src0_sel:DWORD src1_sel:BYTE_0
	v_lshrrev_b16 v74, 1, v74
	s_clause 0x1
	global_load_dwordx4 v[166:169], v2, s[12:13]
	global_load_dwordx4 v[170:173], v2, s[12:13] offset:16
	v_and_b32_e32 v74, 0x7f, v74
	s_clause 0x1
	global_load_dwordx4 v[174:177], v2, s[12:13] offset:32
	global_load_dwordx4 v[178:181], v2, s[12:13] offset:48
	v_add_nc_u16 v54, v74, v54
	v_lshrrev_b16 v54, 2, v54
	v_mul_lo_u16 v2, v54, 7
	v_sub_nc_u16 v2, v14, v2
	v_lshlrev_b32_sdwa v54, v71, v2 dst_sel:DWORD dst_unused:UNUSED_PAD src0_sel:DWORD src1_sel:BYTE_0
	s_clause 0x3
	global_load_dwordx4 v[182:185], v54, s[12:13]
	global_load_dwordx4 v[186:189], v54, s[12:13] offset:16
	global_load_dwordx4 v[190:193], v54, s[12:13] offset:32
	;; [unrolled: 1-line block ×3, first 2 shown]
	s_waitcnt vmcnt(0) lgkmcnt(0)
	s_barrier
	buffer_gl0_inv
	v_mul_f16_sdwa v109, v43, v151 dst_sel:DWORD dst_unused:UNUSED_PAD src0_sel:DWORD src1_sel:WORD_1
	v_mul_f16_sdwa v54, v65, v150 dst_sel:DWORD dst_unused:UNUSED_PAD src0_sel:DWORD src1_sel:WORD_1
	;; [unrolled: 1-line block ×7, first 2 shown]
	v_fmac_f16_e32 v109, v61, v151
	v_mul_f16_sdwa v89, v82, v152 dst_sel:DWORD dst_unused:UNUSED_PAD src0_sel:DWORD src1_sel:WORD_1
	v_mul_f16_sdwa v103, v53, v152 dst_sel:DWORD dst_unused:UNUSED_PAD src0_sel:DWORD src1_sel:WORD_1
	;; [unrolled: 1-line block ×17, first 2 shown]
	v_fma_f16 v113, v48, v150, -v54
	v_fmac_f16_e32 v111, v65, v150
	v_fma_f16 v112, v43, v151, -v71
	v_fma_f16 v98, v52, v154, -v93
	v_fmac_f16_e32 v92, v81, v154
	v_fmac_f16_e32 v107, v80, v165
	v_mul_f16_sdwa v99, v50, v153 dst_sel:DWORD dst_unused:UNUSED_PAD src0_sel:DWORD src1_sel:WORD_1
	v_mul_f16_sdwa v61, v18, v169 dst_sel:DWORD dst_unused:UNUSED_PAD src0_sel:DWORD src1_sel:WORD_1
	;; [unrolled: 1-line block ×6, first 2 shown]
	v_fmac_f16_e32 v61, v149, v169
	v_mul_f16_sdwa v85, v41, v156 dst_sel:DWORD dst_unused:UNUSED_PAD src0_sel:DWORD src1_sel:WORD_1
	v_mul_f16_sdwa v198, v69, v158 dst_sel:DWORD dst_unused:UNUSED_PAD src0_sel:DWORD src1_sel:WORD_1
	;; [unrolled: 1-line block ×7, first 2 shown]
	v_fma_f16 v105, v53, v152, -v89
	v_fmac_f16_e32 v103, v82, v152
	v_fma_f16 v102, v50, v153, -v91
	v_mul_f16_sdwa v152, v62, v170 dst_sel:DWORD dst_unused:UNUSED_PAD src0_sel:DWORD src1_sel:WORD_1
	v_fma_f16 v93, v47, v155, -v95
	v_mul_f16_sdwa v47, v35, v173 dst_sel:DWORD dst_unused:UNUSED_PAD src0_sel:DWORD src1_sel:WORD_1
	v_fma_f16 v89, v41, v156, -v101
	v_fma_f16 v81, v33, v157, -v115
	v_mul_f16_sdwa v52, v12, v175 dst_sel:DWORD dst_unused:UNUSED_PAD src0_sel:DWORD src1_sel:WORD_1
	v_fmac_f16_e32 v76, v55, v157
	v_mul_f16_sdwa v157, v68, v176 dst_sel:DWORD dst_unused:UNUSED_PAD src0_sel:DWORD src1_sel:WORD_1
	v_mul_f16_sdwa v55, v8, v176 dst_sel:DWORD dst_unused:UNUSED_PAD src0_sel:DWORD src1_sel:WORD_1
	;; [unrolled: 1-line block ×3, first 2 shown]
	v_fma_f16 v91, v36, v159, -v199
	v_fmac_f16_e32 v86, v73, v159
	v_fma_f16 v95, v26, v160, -v200
	v_mul_f16_sdwa v73, v11, v180 dst_sel:DWORD dst_unused:UNUSED_PAD src0_sel:DWORD src1_sel:WORD_1
	v_fmac_f16_e32 v90, v79, v160
	v_mul_f16_sdwa v160, v134, v181 dst_sel:DWORD dst_unused:UNUSED_PAD src0_sel:DWORD src1_sel:WORD_1
	v_mul_f16_sdwa v149, v135, v194 dst_sel:DWORD dst_unused:UNUSED_PAD src0_sel:DWORD src1_sel:WORD_1
	v_fma_f16 v101, v13, v161, -v201
	v_fmac_f16_e32 v94, v106, v161
	v_mul_f16_sdwa v161, v136, v182 dst_sel:DWORD dst_unused:UNUSED_PAD src0_sel:DWORD src1_sel:WORD_1
	v_mul_f16_sdwa v199, v138, v184 dst_sel:DWORD dst_unused:UNUSED_PAD src0_sel:DWORD src1_sel:WORD_1
	v_fma_f16 v106, v24, v162, -v202
	v_fmac_f16_e32 v100, v110, v162
	v_mul_f16_sdwa v162, v139, v185 dst_sel:DWORD dst_unused:UNUSED_PAD src0_sel:DWORD src1_sel:WORD_1
	v_fmac_f16_e32 v108, v83, v164
	v_fma_f16 v115, v3, v165, -v205
	v_mul_f16_sdwa v201, v148, v190 dst_sel:DWORD dst_unused:UNUSED_PAD src0_sel:DWORD src1_sel:WORD_1
	v_fma_f16 v80, v6, v167, -v54
	v_mul_f16_sdwa v26, v120, v194 dst_sel:DWORD dst_unused:UNUSED_PAD src0_sel:DWORD src1_sel:WORD_1
	v_fma_f16 v54, v35, v173, -v154
	v_fma_f16 v35, v120, v194, -v149
	v_sub_f16_e32 v120, v111, v107
	v_mul_f16_sdwa v77, v37, v158 dst_sel:DWORD dst_unused:UNUSED_PAD src0_sel:DWORD src1_sel:WORD_1
	v_mul_f16_sdwa v71, v6, v167 dst_sel:DWORD dst_unused:UNUSED_PAD src0_sel:DWORD src1_sel:WORD_1
	;; [unrolled: 1-line block ×4, first 2 shown]
	v_fmac_f16_e32 v99, v57, v153
	v_mul_f16_sdwa v57, v39, v170 dst_sel:DWORD dst_unused:UNUSED_PAD src0_sel:DWORD src1_sel:WORD_1
	v_mul_f16_sdwa v153, v58, v171 dst_sel:DWORD dst_unused:UNUSED_PAD src0_sel:DWORD src1_sel:WORD_1
	;; [unrolled: 1-line block ×3, first 2 shown]
	v_fmac_f16_e32 v88, v64, v155
	v_mul_f16_sdwa v155, v59, v174 dst_sel:DWORD dst_unused:UNUSED_PAD src0_sel:DWORD src1_sel:WORD_1
	v_fmac_f16_e32 v85, v60, v156
	v_mul_f16_sdwa v156, v63, v175 dst_sel:DWORD dst_unused:UNUSED_PAD src0_sel:DWORD src1_sel:WORD_1
	v_mul_f16_sdwa v60, v46, v177 dst_sel:DWORD dst_unused:UNUSED_PAD src0_sel:DWORD src1_sel:WORD_1
	v_fma_f16 v82, v37, v158, -v198
	v_mul_f16_sdwa v159, v87, v180 dst_sel:DWORD dst_unused:UNUSED_PAD src0_sel:DWORD src1_sel:WORD_1
	v_mul_f16_sdwa v79, v34, v181 dst_sel:DWORD dst_unused:UNUSED_PAD src0_sel:DWORD src1_sel:WORD_1
	;; [unrolled: 1-line block ×5, first 2 shown]
	v_fma_f16 v110, v9, v163, -v203
	v_mul_f16_sdwa v24, v122, v185 dst_sel:DWORD dst_unused:UNUSED_PAD src0_sel:DWORD src1_sel:WORD_1
	v_fmac_f16_e32 v104, v114, v163
	v_mul_f16_sdwa v163, v140, v186 dst_sel:DWORD dst_unused:UNUSED_PAD src0_sel:DWORD src1_sel:WORD_1
	v_fma_f16 v114, v5, v164, -v204
	v_mul_f16_sdwa v164, v141, v187 dst_sel:DWORD dst_unused:UNUSED_PAD src0_sel:DWORD src1_sel:WORD_1
	v_fma_f16 v83, v4, v166, -v206
	v_mul_f16_sdwa v4, v130, v190 dst_sel:DWORD dst_unused:UNUSED_PAD src0_sel:DWORD src1_sel:WORD_1
	v_fmac_f16_e32 v74, v67, v166
	v_mul_f16_sdwa v36, v42, v195 dst_sel:DWORD dst_unused:UNUSED_PAD src0_sel:DWORD src1_sel:WORD_1
	v_fma_f16 v67, v39, v170, -v152
	v_mul_f16_sdwa v39, v45, v196 dst_sel:DWORD dst_unused:UNUSED_PAD src0_sel:DWORD src1_sel:WORD_1
	v_mul_f16_sdwa v41, v49, v197 dst_sel:DWORD dst_unused:UNUSED_PAD src0_sel:DWORD src1_sel:WORD_1
	v_fmac_f16_e32 v52, v63, v175
	v_fma_f16 v63, v8, v176, -v157
	v_fmac_f16_e32 v55, v68, v176
	v_fma_f16 v68, v46, v177, -v208
	v_fmac_f16_e32 v73, v87, v180
	v_fma_f16 v87, v34, v181, -v160
	v_fma_f16 v46, v38, v182, -v161
	v_fma_f16 v38, v121, v184, -v199
	;; [unrolled: 1-line block ×4, first 2 shown]
	v_add_f16_e32 v121, v113, v115
	v_sub_f16_e32 v122, v109, v108
	v_mul_f16_e32 v130, 0xb5c8, v120
	v_mul_f16_sdwa v53, v17, v171 dst_sel:DWORD dst_unused:UNUSED_PAD src0_sel:DWORD src1_sel:WORD_1
	v_mul_f16_sdwa v207, v56, v172 dst_sel:DWORD dst_unused:UNUSED_PAD src0_sel:DWORD src1_sel:WORD_1
	;; [unrolled: 1-line block ×4, first 2 shown]
	v_fmac_f16_e32 v77, v69, v158
	v_mul_f16_sdwa v158, v84, v179 dst_sel:DWORD dst_unused:UNUSED_PAD src0_sel:DWORD src1_sel:WORD_1
	v_mul_f16_sdwa v69, v19, v179 dst_sel:DWORD dst_unused:UNUSED_PAD src0_sel:DWORD src1_sel:WORD_1
	;; [unrolled: 1-line block ×10, first 2 shown]
	v_fmac_f16_e32 v71, v75, v167
	v_mul_f16_sdwa v167, v145, v192 dst_sel:DWORD dst_unused:UNUSED_PAD src0_sel:DWORD src1_sel:WORD_1
	v_fma_f16 v75, v10, v168, -v150
	v_fmac_f16_e32 v65, v70, v168
	v_fma_f16 v70, v18, v169, -v151
	v_mul_f16_sdwa v18, v127, v193 dst_sel:DWORD dst_unused:UNUSED_PAD src0_sel:DWORD src1_sel:WORD_1
	v_mul_f16_sdwa v151, v133, v195 dst_sel:DWORD dst_unused:UNUSED_PAD src0_sel:DWORD src1_sel:WORD_1
	;; [unrolled: 1-line block ×3, first 2 shown]
	v_fmac_f16_e32 v57, v62, v170
	v_mul_f16_sdwa v152, v131, v197 dst_sel:DWORD dst_unused:UNUSED_PAD src0_sel:DWORD src1_sel:WORD_1
	v_fma_f16 v62, v17, v171, -v153
	v_fmac_f16_e32 v50, v56, v172
	v_fma_f16 v56, v25, v174, -v155
	v_fmac_f16_e32 v79, v134, v181
	v_fmac_f16_e32 v43, v136, v182
	;; [unrolled: 1-line block ×3, first 2 shown]
	v_fma_f16 v25, v123, v186, -v163
	v_fma_f16 v17, v124, v187, -v164
	v_fmac_f16_e32 v26, v135, v194
	v_fmac_f16_e32 v36, v133, v195
	;; [unrolled: 1-line block ×4, first 2 shown]
	v_add_f16_e32 v123, v112, v114
	v_sub_f16_e32 v124, v103, v104
	v_mul_f16_e32 v131, 0xb964, v120
	v_mul_f16_e32 v132, 0xbb29, v120
	;; [unrolled: 1-line block ×8, first 2 shown]
	v_fma_f16 v162, v121, 0x3b76, -v130
	v_mul_f16_sdwa v209, v78, v178 dst_sel:DWORD dst_unused:UNUSED_PAD src0_sel:DWORD src1_sel:WORD_1
	v_mul_f16_sdwa v6, v129, v191 dst_sel:DWORD dst_unused:UNUSED_PAD src0_sel:DWORD src1_sel:WORD_1
	;; [unrolled: 1-line block ×4, first 2 shown]
	v_fmac_f16_e32 v53, v58, v171
	v_fma_f16 v58, v7, v172, -v207
	v_fmac_f16_e32 v48, v59, v174
	v_fma_f16 v59, v12, v175, -v156
	;; [unrolled: 2-line block ×4, first 2 shown]
	v_fmac_f16_e32 v33, v138, v184
	v_fmac_f16_e32 v24, v139, v185
	;; [unrolled: 1-line block ×4, first 2 shown]
	v_fma_f16 v11, v125, v188, -v165
	v_fmac_f16_e32 v5, v142, v188
	v_fma_f16 v7, v126, v189, -v200
	v_fmac_f16_e32 v3, v143, v189
	v_fma_f16 v12, v129, v191, -v166
	v_fma_f16 v19, v128, v192, -v167
	v_fmac_f16_e32 v18, v144, v193
	v_fma_f16 v45, v45, v196, -v168
	v_add_f16_e32 v125, v105, v110
	v_sub_f16_e32 v126, v99, v100
	v_mul_f16_e32 v138, 0xbbf7, v122
	v_mul_f16_e32 v139, 0xba62, v122
	;; [unrolled: 1-line block ×8, first 2 shown]
	v_fmac_f16_e32 v130, 0x3b76, v121
	v_fma_f16 v163, v121, 0x39e9, -v131
	v_fmac_f16_e32 v131, 0x39e9, v121
	v_fma_f16 v164, v121, 0x3722, -v132
	;; [unrolled: 2-line block ×8, first 2 shown]
	v_add_f16_e32 v162, v96, v162
	v_fmac_f16_e32 v47, v72, v173
	v_fmac_f16_e32 v60, v146, v177
	v_fma_f16 v72, v32, v178, -v209
	v_fmac_f16_e32 v4, v148, v190
	v_fmac_f16_e32 v6, v147, v191
	;; [unrolled: 1-line block ×3, first 2 shown]
	v_fma_f16 v32, v127, v193, -v150
	v_fma_f16 v42, v42, v195, -v151
	v_add_f16_e32 v127, v102, v106
	v_sub_f16_e32 v128, v92, v94
	v_mul_f16_e32 v145, 0xba62, v124
	v_mul_f16_e32 v146, 0x31e1, v124
	v_mul_f16_e32 v147, 0x3bb2, v124
	v_mul_f16_e32 v148, 0x3964, v124
	v_mul_f16_e32 v149, 0xb5c8, v124
	v_mul_f16_e32 v150, 0xbbf7, v124
	v_mul_f16_e32 v124, 0xb836, v124
	v_mul_f16_e32 v151, 0xbbf7, v126
	v_fmac_f16_e32 v137, 0x39e9, v123
	v_fma_f16 v170, v123, 0x2de8, -v138
	v_fmac_f16_e32 v138, 0x2de8, v123
	v_fma_f16 v171, v123, 0xb8d2, -v139
	;; [unrolled: 2-line block ×8, first 2 shown]
	v_add_f16_e32 v130, v96, v130
	v_add_f16_e32 v163, v96, v163
	;; [unrolled: 1-line block ×12, first 2 shown]
	v_fma_f16 v44, v44, v183, -v198
	v_fma_f16 v49, v49, v197, -v152
	v_add_f16_e32 v129, v98, v101
	v_mul_f16_e32 v152, 0xb1e1, v126
	v_mul_f16_e32 v153, 0x3bb2, v126
	;; [unrolled: 1-line block ×8, first 2 shown]
	v_fmac_f16_e32 v144, 0x3722, v125
	v_fma_f16 v177, v125, 0xb8d2, -v145
	v_fmac_f16_e32 v145, 0xb8d2, v125
	v_fma_f16 v178, v125, 0xbbdd, -v146
	;; [unrolled: 2-line block ×8, first 2 shown]
	v_add_f16_e32 v134, v96, v134
	v_add_f16_e32 v167, v96, v167
	v_add_f16_e32 v136, v96, v136
	v_add_f16_e32 v169, v96, v169
	v_add_f16_e32 v130, v137, v130
	v_add_f16_e32 v137, v170, v163
	v_add_f16_e32 v131, v138, v131
	v_add_f16_e32 v138, v171, v164
	v_add_f16_e32 v132, v139, v132
	v_add_f16_e32 v139, v172, v165
	v_add_f16_e32 v133, v140, v133
	v_add_f16_e32 v140, v173, v166
	v_add_f16_e32 v135, v142, v135
	v_add_f16_e32 v142, v175, v168
	v_add_f16_e32 v120, v122, v120
	v_add_f16_e32 v121, v123, v121
	v_mul_f16_e32 v161, 0xbb29, v128
	v_fmac_f16_e32 v151, 0x2de8, v127
	v_fma_f16 v184, v127, 0xbbdd, -v152
	v_fmac_f16_e32 v152, 0xbbdd, v127
	v_fma_f16 v185, v127, 0xb461, -v153
	v_fmac_f16_e32 v153, 0xb461, v127
	v_fma_f16 v186, v127, 0x3b76, -v154
	v_fmac_f16_e32 v154, 0x3b76, v127
	v_fma_f16 v187, v127, 0x3722, -v155
	v_fmac_f16_e32 v155, 0x3722, v127
	v_fma_f16 v188, v127, 0xbacd, -v156
	v_fmac_f16_e32 v156, 0xbacd, v127
	v_fma_f16 v189, v127, 0xb8d2, -v157
	v_fmac_f16_e32 v157, 0xb8d2, v127
	v_fma_f16 v190, v127, 0x39e9, -v126
	v_fmac_f16_e32 v126, 0x39e9, v127
	v_fma_f16 v127, v129, 0xb461, -v158
	v_add_f16_e32 v134, v141, v134
	v_add_f16_e32 v141, v174, v167
	;; [unrolled: 1-line block ×26, first 2 shown]
	v_mul_f16_e32 v126, 0xb1e1, v128
	v_fma_f16 v127, v129, 0x3722, -v161
	v_mul_f16_e32 v140, 0x3bf7, v128
	v_add_f16_e32 v134, v148, v134
	v_add_f16_e32 v135, v149, v135
	;; [unrolled: 1-line block ×4, first 2 shown]
	v_fma_f16 v141, v129, 0xbbdd, -v126
	v_add_f16_e32 v127, v127, v131
	v_fma_f16 v131, v129, 0x2de8, -v140
	v_mul_f16_e32 v159, 0x3836, v128
	v_mul_f16_e32 v160, 0x3964, v128
	v_add_f16_e32 v136, v150, v136
	v_add_f16_e32 v134, v155, v134
	;; [unrolled: 1-line block ×3, first 2 shown]
	v_fmac_f16_e32 v126, 0xbbdd, v129
	v_add_f16_e32 v133, v141, v133
	v_mul_f16_e32 v141, 0xb5c8, v128
	v_add_f16_e32 v131, v131, v137
	v_mul_f16_e32 v128, 0xba62, v128
	v_fmac_f16_e32 v140, 0x2de8, v129
	v_sub_f16_e32 v137, v88, v90
	v_fmac_f16_e32 v158, 0xb461, v129
	v_fma_f16 v191, v129, 0xbacd, -v159
	v_fmac_f16_e32 v159, 0xbacd, v129
	v_fma_f16 v192, v129, 0x39e9, -v160
	v_fmac_f16_e32 v160, 0x39e9, v129
	v_add_f16_e32 v122, v151, v122
	v_add_f16_e32 v136, v157, v136
	v_fmac_f16_e32 v161, 0x3722, v129
	v_add_f16_e32 v126, v126, v134
	v_fma_f16 v134, v129, 0x3b76, -v141
	v_fmac_f16_e32 v141, 0x3b76, v129
	v_fma_f16 v142, v129, 0xb8d2, -v128
	v_fmac_f16_e32 v128, 0xb8d2, v129
	v_add_f16_e32 v129, v140, v135
	v_add_f16_e32 v135, v93, v95
	v_mul_f16_e32 v140, 0xba62, v137
	v_add_f16_e32 v122, v158, v122
	v_add_f16_e32 v134, v134, v138
	;; [unrolled: 1-line block ×4, first 2 shown]
	v_mul_f16_e32 v139, 0x3bb2, v137
	v_fma_f16 v141, v135, 0xb8d2, -v140
	v_fmac_f16_e32 v140, 0xb8d2, v135
	v_add_f16_e32 v120, v128, v120
	v_mul_f16_e32 v128, 0xb5c8, v137
	v_add_f16_e32 v123, v184, v123
	v_add_f16_e32 v124, v159, v124
	;; [unrolled: 1-line block ×4, first 2 shown]
	v_fma_f16 v142, v135, 0xb461, -v139
	v_add_f16_e32 v121, v141, v121
	v_add_f16_e32 v122, v140, v122
	v_fmac_f16_e32 v139, 0xb461, v135
	v_fma_f16 v140, v135, 0x3b76, -v128
	v_mul_f16_e32 v141, 0xb836, v137
	v_fmac_f16_e32 v128, 0x3b76, v135
	v_add_f16_e32 v123, v191, v123
	v_add_f16_e32 v132, v161, v132
	;; [unrolled: 1-line block ×4, first 2 shown]
	v_mul_f16_e32 v139, 0x3bf7, v137
	v_fma_f16 v140, v135, 0xbacd, -v141
	v_add_f16_e32 v128, v128, v130
	v_mul_f16_e32 v130, 0xb964, v137
	v_fmac_f16_e32 v141, 0xbacd, v135
	v_add_f16_e32 v123, v142, v123
	v_fma_f16 v142, v135, 0x2de8, -v139
	v_add_f16_e32 v127, v140, v127
	v_fmac_f16_e32 v139, 0x2de8, v135
	v_fma_f16 v140, v135, 0x39e9, -v130
	v_add_f16_e32 v132, v141, v132
	v_mul_f16_e32 v141, 0xb1e1, v137
	v_mul_f16_e32 v137, 0x3b29, v137
	v_add_f16_e32 v126, v139, v126
	v_add_f16_e32 v131, v140, v131
	v_fmac_f16_e32 v130, 0x39e9, v135
	v_fma_f16 v139, v135, 0xbbdd, -v141
	v_sub_f16_e32 v140, v85, v86
	v_add_f16_e32 v133, v142, v133
	v_fmac_f16_e32 v141, 0xbbdd, v135
	v_fma_f16 v142, v135, 0x3722, -v137
	v_fmac_f16_e32 v137, 0x3722, v135
	v_add_f16_e32 v129, v130, v129
	v_add_f16_e32 v130, v89, v91
	v_mul_f16_e32 v135, 0xb836, v140
	v_add_f16_e32 v134, v139, v134
	v_mul_f16_e32 v139, 0x3b29, v140
	v_add_f16_e32 v136, v141, v136
	v_add_f16_e32 v138, v142, v138
	v_fma_f16 v141, v130, 0xbacd, -v135
	v_fmac_f16_e32 v135, 0xbacd, v130
	v_add_f16_e32 v120, v137, v120
	v_mul_f16_e32 v137, 0xbbf7, v140
	v_fma_f16 v142, v130, 0x3722, -v139
	v_add_f16_e32 v121, v141, v121
	v_add_f16_e32 v122, v135, v122
	v_fmac_f16_e32 v139, 0x3722, v130
	v_fma_f16 v135, v130, 0x2de8, -v137
	v_add_f16_e32 v141, v142, v123
	v_mul_f16_e32 v123, 0x3a62, v140
	v_fmac_f16_e32 v137, 0x2de8, v130
	v_add_f16_e32 v139, v139, v124
	v_add_f16_e32 v125, v135, v125
	v_mul_f16_e32 v124, 0xb5c8, v140
	v_fma_f16 v135, v130, 0xb8d2, -v123
	v_add_f16_e32 v128, v137, v128
	v_mul_f16_e32 v137, 0xb1e1, v140
	v_fmac_f16_e32 v123, 0xb8d2, v130
	v_fma_f16 v142, v130, 0x3b76, -v124
	v_add_f16_e32 v127, v135, v127
	v_fmac_f16_e32 v124, 0x3b76, v130
	v_fma_f16 v135, v130, 0xbbdd, -v137
	v_add_f16_e32 v132, v123, v132
	v_mul_f16_e32 v123, 0x3964, v140
	v_add_f16_e32 v133, v142, v133
	v_add_f16_e32 v142, v124, v126
	;; [unrolled: 1-line block ×3, first 2 shown]
	v_mul_f16_e32 v124, 0xbbb2, v140
	v_fmac_f16_e32 v137, 0xbbdd, v130
	v_fma_f16 v126, v130, 0x39e9, -v123
	v_sub_f16_e32 v135, v76, v77
	v_fmac_f16_e32 v123, 0x39e9, v130
	v_fma_f16 v140, v130, 0xb461, -v124
	v_fmac_f16_e32 v124, 0xb461, v130
	v_add_f16_e32 v137, v137, v129
	v_add_f16_e32 v143, v81, v82
	v_mul_f16_e32 v129, 0xb1e1, v135
	v_add_f16_e32 v134, v126, v134
	v_mul_f16_e32 v126, 0x35c8, v135
	v_add_f16_e32 v136, v123, v136
	v_add_f16_e32 v138, v140, v138
	v_fma_f16 v123, v143, 0xbbdd, -v129
	v_fmac_f16_e32 v129, 0xbbdd, v143
	v_add_f16_e32 v140, v124, v120
	v_mul_f16_e32 v130, 0xb836, v135
	v_fma_f16 v124, v143, 0x3b76, -v126
	v_fmac_f16_e32 v126, 0x3b76, v143
	v_add_f16_e32 v123, v123, v121
	v_add_f16_e32 v120, v129, v122
	v_fma_f16 v122, v143, 0xbacd, -v130
	v_mul_f16_e32 v129, 0x3964, v135
	v_fmac_f16_e32 v130, 0xbacd, v143
	v_add_f16_e32 v121, v126, v139
	v_mul_f16_e32 v139, 0xba62, v135
	v_add_f16_e32 v124, v124, v141
	v_add_f16_e32 v125, v122, v125
	v_fma_f16 v126, v143, 0x39e9, -v129
	v_add_f16_e32 v122, v130, v128
	v_fmac_f16_e32 v129, 0x39e9, v143
	v_mul_f16_e32 v141, 0x3b29, v135
	v_fma_f16 v130, v143, 0xb8d2, -v139
	v_fmac_f16_e32 v139, 0xb8d2, v143
	v_add_f16_e32 v128, v126, v127
	v_add_f16_e32 v126, v129, v132
	v_fma_f16 v132, v143, 0x3722, -v141
	v_mul_f16_e32 v144, 0xbbb2, v135
	v_add_f16_e32 v127, v139, v142
	v_mul_f16_e32 v135, 0x3bf7, v135
	v_fmac_f16_e32 v141, 0x3722, v143
	v_sub_f16_e32 v142, v74, v79
	v_add_f16_e32 v129, v130, v133
	v_add_f16_e32 v130, v132, v131
	v_fma_f16 v132, v143, 0xb461, -v144
	v_fma_f16 v139, v143, 0x2de8, -v135
	v_add_f16_e32 v131, v141, v137
	v_add_f16_e32 v137, v83, v87
	v_mul_f16_e32 v141, 0xb5c8, v142
	v_sub_f16_e32 v149, v71, v73
	v_fmac_f16_e32 v144, 0xb461, v143
	v_add_f16_e32 v133, v132, v134
	v_add_f16_e32 v134, v139, v138
	v_fma_f16 v138, v137, 0x3b76, -v141
	v_fmac_f16_e32 v141, 0x3b76, v137
	v_add_f16_e32 v152, v80, v84
	v_mul_f16_e32 v153, 0xb964, v149
	v_fmac_f16_e32 v135, 0x2de8, v143
	v_add_f16_e32 v132, v144, v136
	v_mul_f16_e32 v136, 0xb964, v142
	v_mul_f16_e32 v139, 0xbb29, v142
	;; [unrolled: 1-line block ×7, first 2 shown]
	v_add_f16_e32 v138, v97, v138
	v_fma_f16 v155, v152, 0x39e9, -v153
	v_add_f16_e32 v141, v97, v141
	v_fmac_f16_e32 v153, 0x39e9, v152
	v_add_f16_e32 v135, v135, v140
	v_fma_f16 v140, v137, 0x39e9, -v136
	v_fmac_f16_e32 v136, 0x39e9, v137
	v_fma_f16 v145, v137, 0x3722, -v139
	v_fmac_f16_e32 v139, 0x3722, v137
	;; [unrolled: 2-line block ×6, first 2 shown]
	v_fma_f16 v156, v137, 0xbbdd, -v142
	v_mul_f16_e32 v157, 0xbbf7, v149
	v_fmac_f16_e32 v142, 0xbbdd, v137
	v_add_f16_e32 v137, v155, v138
	v_add_f16_e32 v138, v153, v141
	v_mul_f16_e32 v153, 0xba62, v149
	v_mul_f16_e32 v155, 0xb1e1, v149
	v_add_f16_e32 v140, v97, v140
	v_fma_f16 v141, v152, 0x2de8, -v157
	v_add_f16_e32 v145, v97, v145
	v_fma_f16 v158, v152, 0xb8d2, -v153
	;; [unrolled: 2-line block ×3, first 2 shown]
	v_add_f16_e32 v136, v97, v136
	v_fmac_f16_e32 v157, 0x2de8, v152
	v_add_f16_e32 v140, v141, v140
	v_add_f16_e32 v141, v158, v145
	;; [unrolled: 1-line block ×3, first 2 shown]
	v_mul_f16_e32 v146, 0x3836, v149
	v_add_f16_e32 v139, v97, v139
	v_fmac_f16_e32 v153, 0xb8d2, v152
	v_add_f16_e32 v136, v157, v136
	v_add_f16_e32 v144, v97, v144
	v_fma_f16 v157, v152, 0xbacd, -v146
	v_fmac_f16_e32 v146, 0xbacd, v152
	v_add_f16_e32 v139, v153, v139
	v_add_f16_e32 v143, v97, v143
	v_fmac_f16_e32 v155, 0xbbdd, v152
	v_mul_f16_e32 v153, 0x3bb2, v149
	v_add_f16_e32 v144, v146, v144
	v_mul_f16_e32 v146, 0x3b29, v149
	v_add_f16_e32 v148, v97, v148
	v_add_f16_e32 v143, v155, v143
	v_fma_f16 v158, v152, 0xb461, -v153
	v_fmac_f16_e32 v153, 0xb461, v152
	v_add_f16_e32 v154, v97, v154
	v_fma_f16 v155, v152, 0x3722, -v146
	v_add_f16_e32 v147, v97, v147
	v_add_f16_e32 v150, v97, v150
	v_fmac_f16_e32 v146, 0x3722, v152
	v_add_f16_e32 v148, v153, v148
	v_mul_f16_e32 v149, 0x35c8, v149
	v_add_f16_e32 v153, v155, v154
	v_sub_f16_e32 v154, v65, v69
	v_add_f16_e32 v147, v157, v147
	v_add_f16_e32 v146, v146, v150
	;; [unrolled: 1-line block ×3, first 2 shown]
	v_fma_f16 v155, v152, 0x3b76, -v149
	v_add_f16_e32 v156, v75, v78
	v_mul_f16_e32 v157, 0xbb29, v154
	v_fmac_f16_e32 v149, 0x3b76, v152
	v_add_f16_e32 v142, v97, v142
	v_add_f16_e32 v151, v97, v151
	;; [unrolled: 1-line block ×3, first 2 shown]
	v_mul_f16_e32 v152, 0xba62, v154
	v_fma_f16 v155, v156, 0x3722, -v157
	v_fmac_f16_e32 v157, 0x3722, v156
	v_add_f16_e32 v142, v149, v142
	v_mul_f16_e32 v149, 0x31e1, v154
	v_add_f16_e32 v151, v158, v151
	v_fma_f16 v158, v156, 0xb8d2, -v152
	v_add_f16_e32 v137, v155, v137
	v_add_f16_e32 v138, v157, v138
	v_fmac_f16_e32 v152, 0xb8d2, v156
	v_fma_f16 v155, v156, 0xbbdd, -v149
	v_mul_f16_e32 v157, 0x3bb2, v154
	v_fmac_f16_e32 v149, 0xbbdd, v156
	v_add_f16_e32 v140, v158, v140
	v_add_f16_e32 v136, v152, v136
	;; [unrolled: 1-line block ×3, first 2 shown]
	v_mul_f16_e32 v152, 0x3964, v154
	v_fma_f16 v155, v156, 0xb461, -v157
	v_add_f16_e32 v139, v149, v139
	v_mul_f16_e32 v149, 0xb5c8, v154
	v_fmac_f16_e32 v157, 0xb461, v156
	v_fma_f16 v158, v156, 0x39e9, -v152
	v_add_f16_e32 v145, v155, v145
	v_fmac_f16_e32 v152, 0x39e9, v156
	v_fma_f16 v155, v156, 0x3b76, -v149
	v_add_f16_e32 v143, v157, v143
	v_mul_f16_e32 v157, 0xbbf7, v154
	v_fmac_f16_e32 v149, 0x3b76, v156
	v_add_f16_e32 v144, v152, v144
	v_add_f16_e32 v151, v155, v151
	v_mul_f16_e32 v152, 0xb836, v154
	v_sub_f16_e32 v155, v61, v64
	v_add_f16_e32 v147, v158, v147
	v_fma_f16 v154, v156, 0x2de8, -v157
	v_fmac_f16_e32 v157, 0x2de8, v156
	v_fma_f16 v158, v156, 0xbacd, -v152
	v_fmac_f16_e32 v152, 0xbacd, v156
	v_add_f16_e32 v148, v149, v148
	v_add_f16_e32 v149, v70, v72
	v_mul_f16_e32 v156, 0xbbf7, v155
	v_add_f16_e32 v153, v154, v153
	v_add_f16_e32 v146, v157, v146
	v_mul_f16_e32 v154, 0xb1e1, v155
	v_add_f16_e32 v142, v152, v142
	v_fma_f16 v157, v149, 0x2de8, -v156
	v_fmac_f16_e32 v156, 0x2de8, v149
	v_mul_f16_e32 v152, 0x3bb2, v155
	v_add_f16_e32 v150, v158, v150
	v_fma_f16 v158, v149, 0xbbdd, -v154
	v_add_f16_e32 v137, v157, v137
	v_add_f16_e32 v138, v156, v138
	v_fmac_f16_e32 v154, 0xbbdd, v149
	v_fma_f16 v156, v149, 0xb461, -v152
	v_mul_f16_e32 v157, 0x35c8, v155
	v_fmac_f16_e32 v152, 0xb461, v149
	v_add_f16_e32 v140, v158, v140
	v_add_f16_e32 v136, v154, v136
	;; [unrolled: 1-line block ×3, first 2 shown]
	v_mul_f16_e32 v154, 0xbb29, v155
	v_fma_f16 v156, v149, 0x3b76, -v157
	v_add_f16_e32 v139, v152, v139
	v_mul_f16_e32 v152, 0xb836, v155
	v_fmac_f16_e32 v157, 0x3b76, v149
	v_fma_f16 v158, v149, 0x3722, -v154
	v_add_f16_e32 v145, v156, v145
	v_fmac_f16_e32 v154, 0x3722, v149
	v_fma_f16 v156, v149, 0xbacd, -v152
	v_add_f16_e32 v143, v157, v143
	v_mul_f16_e32 v157, 0x3a62, v155
	v_fmac_f16_e32 v152, 0xbacd, v149
	v_add_f16_e32 v144, v154, v144
	v_add_f16_e32 v151, v156, v151
	v_mul_f16_e32 v154, 0x3964, v155
	v_sub_f16_e32 v156, v57, v60
	v_add_f16_e32 v147, v158, v147
	v_fma_f16 v155, v149, 0xb8d2, -v157
	v_fmac_f16_e32 v157, 0xb8d2, v149
	v_fma_f16 v158, v149, 0x39e9, -v154
	v_fmac_f16_e32 v154, 0x39e9, v149
	v_add_f16_e32 v148, v152, v148
	v_add_f16_e32 v149, v67, v68
	v_mul_f16_e32 v152, 0xbbb2, v156
	v_add_f16_e32 v146, v157, v146
	v_add_f16_e32 v142, v154, v142
	v_mul_f16_e32 v154, 0x3964, v156
	v_add_f16_e32 v153, v155, v153
	v_fma_f16 v157, v149, 0xb461, -v152
	v_fmac_f16_e32 v152, 0xb461, v149
	v_mul_f16_e32 v155, 0x3836, v156
	v_add_f16_e32 v150, v158, v150
	v_add_f16_e32 v96, v96, v113
	v_add_f16_e32 v137, v157, v137
	v_add_f16_e32 v138, v152, v138
	v_fma_f16 v152, v149, 0x39e9, -v154
	v_fma_f16 v158, v149, 0xbacd, -v155
	v_fmac_f16_e32 v155, 0xbacd, v149
	v_mul_f16_e32 v157, 0xbb29, v156
	v_fmac_f16_e32 v154, 0x39e9, v149
	v_add_f16_e32 v141, v152, v141
	v_mul_f16_e32 v152, 0xb1e1, v156
	v_add_f16_e32 v140, v158, v140
	v_add_f16_e32 v136, v155, v136
	v_fma_f16 v155, v149, 0x3722, -v157
	v_add_f16_e32 v139, v154, v139
	v_mul_f16_e32 v154, 0x3bf7, v156
	v_fmac_f16_e32 v157, 0x3722, v149
	v_fma_f16 v158, v149, 0xbbdd, -v152
	v_fmac_f16_e32 v152, 0xbbdd, v149
	v_add_f16_e32 v145, v155, v145
	v_fma_f16 v155, v149, 0x2de8, -v154
	v_add_f16_e32 v143, v157, v143
	v_mul_f16_e32 v157, 0xb5c8, v156
	v_add_f16_e32 v144, v152, v144
	v_mul_f16_e32 v152, 0xba62, v156
	v_fmac_f16_e32 v154, 0x2de8, v149
	v_sub_f16_e32 v156, v53, v55
	v_add_f16_e32 v147, v158, v147
	v_add_f16_e32 v151, v155, v151
	v_fma_f16 v155, v149, 0x3b76, -v157
	v_fmac_f16_e32 v157, 0x3b76, v149
	v_fma_f16 v158, v149, 0xb8d2, -v152
	v_fmac_f16_e32 v152, 0xb8d2, v149
	v_add_f16_e32 v148, v154, v148
	v_add_f16_e32 v149, v62, v63
	v_mul_f16_e32 v154, 0xba62, v156
	v_add_f16_e32 v146, v157, v146
	v_add_f16_e32 v142, v152, v142
	v_mul_f16_e32 v152, 0xb5c8, v156
	v_add_f16_e32 v153, v155, v153
	v_fma_f16 v157, v149, 0xb8d2, -v154
	v_fmac_f16_e32 v154, 0xb8d2, v149
	v_mul_f16_e32 v155, 0x3bb2, v156
	v_add_f16_e32 v150, v158, v150
	v_add_f16_e32 v96, v96, v112
	v_add_f16_e32 v137, v157, v137
	v_add_f16_e32 v138, v154, v138
	v_fma_f16 v154, v149, 0x3b76, -v152
	v_fma_f16 v158, v149, 0xb461, -v155
	v_fmac_f16_e32 v155, 0xb461, v149
	v_mul_f16_e32 v157, 0xb836, v156
	v_fmac_f16_e32 v152, 0x3b76, v149
	v_add_f16_e32 v141, v154, v141
	v_mul_f16_e32 v154, 0x3bf7, v156
	v_add_f16_e32 v140, v158, v140
	v_add_f16_e32 v136, v155, v136
	v_fma_f16 v155, v149, 0xbacd, -v157
	v_add_f16_e32 v139, v152, v139
	v_mul_f16_e32 v152, 0xb964, v156
	v_fmac_f16_e32 v157, 0xbacd, v149
	v_fma_f16 v158, v149, 0x2de8, -v154
	v_fmac_f16_e32 v154, 0x2de8, v149
	v_add_f16_e32 v145, v155, v145
	v_fma_f16 v155, v149, 0x39e9, -v152
	v_add_f16_e32 v143, v157, v143
	v_mul_f16_e32 v157, 0xb1e1, v156
	v_add_f16_e32 v144, v154, v144
	v_mul_f16_e32 v154, 0x3b29, v156
	v_fmac_f16_e32 v152, 0x39e9, v149
	v_sub_f16_e32 v156, v50, v52
	v_add_f16_e32 v147, v158, v147
	v_add_f16_e32 v151, v155, v151
	v_fma_f16 v155, v149, 0xbbdd, -v157
	v_fmac_f16_e32 v157, 0xbbdd, v149
	v_fma_f16 v158, v149, 0x3722, -v154
	v_fmac_f16_e32 v154, 0x3722, v149
	v_add_f16_e32 v148, v152, v148
	v_add_f16_e32 v149, v58, v59
	v_mul_f16_e32 v152, 0xb836, v156
	v_add_f16_e32 v146, v157, v146
	v_add_f16_e32 v142, v154, v142
	v_mul_f16_e32 v154, 0xbbf7, v156
	v_add_f16_e32 v153, v155, v153
	v_fma_f16 v157, v149, 0xbacd, -v152
	v_fmac_f16_e32 v152, 0xbacd, v149
	v_mul_f16_e32 v155, 0x3b29, v156
	v_add_f16_e32 v150, v158, v150
	v_add_f16_e32 v96, v96, v105
	;; [unrolled: 1-line block ×4, first 2 shown]
	v_fma_f16 v152, v149, 0x2de8, -v154
	v_fma_f16 v158, v149, 0x3722, -v155
	v_fmac_f16_e32 v155, 0x3722, v149
	v_mul_f16_e32 v157, 0x3a62, v156
	v_fmac_f16_e32 v154, 0x2de8, v149
	v_add_f16_e32 v141, v152, v141
	v_mul_f16_e32 v152, 0xb5c8, v156
	v_add_f16_e32 v140, v158, v140
	v_add_f16_e32 v136, v155, v136
	v_fma_f16 v155, v149, 0xb8d2, -v157
	v_add_f16_e32 v139, v154, v139
	v_mul_f16_e32 v154, 0xb1e1, v156
	v_fmac_f16_e32 v157, 0xb8d2, v149
	v_fma_f16 v158, v149, 0x3b76, -v152
	v_fmac_f16_e32 v152, 0x3b76, v149
	v_add_f16_e32 v97, v97, v83
	v_add_f16_e32 v145, v155, v145
	v_fma_f16 v155, v149, 0xbbdd, -v154
	v_add_f16_e32 v143, v157, v143
	v_mul_f16_e32 v157, 0x3964, v156
	v_add_f16_e32 v144, v152, v144
	v_mul_f16_e32 v152, 0xbbb2, v156
	v_sub_f16_e32 v156, v47, v48
	v_add_f16_e32 v96, v96, v102
	v_add_f16_e32 v97, v97, v80
	;; [unrolled: 1-line block ×4, first 2 shown]
	v_fmac_f16_e32 v154, 0xbbdd, v149
	v_fma_f16 v155, v149, 0x39e9, -v157
	v_fmac_f16_e32 v157, 0x39e9, v149
	v_fma_f16 v158, v149, 0xb461, -v152
	v_fmac_f16_e32 v152, 0xb461, v149
	v_add_f16_e32 v149, v54, v56
	v_mul_f16_e32 v159, 0xb1e1, v156
	v_add_f16_e32 v96, v96, v98
	v_add_f16_e32 v97, v97, v75
	;; [unrolled: 1-line block ×4, first 2 shown]
	v_fma_f16 v154, v149, 0xbbdd, -v159
	v_mul_f16_e32 v155, 0x35c8, v156
	v_add_f16_e32 v96, v96, v93
	v_add_f16_e32 v97, v97, v70
	;; [unrolled: 1-line block ×4, first 2 shown]
	v_fma_f16 v152, v149, 0x3b76, -v155
	v_mul_f16_e32 v154, 0xb836, v156
	v_fmac_f16_e32 v155, 0x3b76, v149
	v_add_f16_e32 v96, v96, v89
	v_add_f16_e32 v97, v97, v67
	;; [unrolled: 1-line block ×3, first 2 shown]
	v_fma_f16 v152, v149, 0xbacd, -v154
	v_add_f16_e32 v136, v155, v136
	v_mul_f16_e32 v155, 0x3964, v156
	v_add_f16_e32 v96, v96, v81
	v_add_f16_e32 v97, v97, v62
	;; [unrolled: 1-line block ×3, first 2 shown]
	v_fmac_f16_e32 v154, 0xbacd, v149
	v_fma_f16 v152, v149, 0x39e9, -v155
	v_add_f16_e32 v96, v96, v82
	v_add_f16_e32 v97, v97, v58
	v_fmac_f16_e32 v155, 0x39e9, v149
	v_add_f16_e32 v139, v154, v139
	v_add_f16_e32 v145, v152, v145
	v_mul_f16_e32 v152, 0xba62, v156
	v_add_f16_e32 v96, v96, v91
	v_add_f16_e32 v97, v97, v54
	;; [unrolled: 1-line block ×3, first 2 shown]
	v_mul_f16_e32 v154, 0x3b29, v156
	v_fma_f16 v155, v149, 0xb8d2, -v152
	v_fmac_f16_e32 v152, 0xb8d2, v149
	v_add_f16_e32 v96, v96, v95
	v_add_f16_e32 v97, v97, v56
	;; [unrolled: 1-line block ×3, first 2 shown]
	v_fma_f16 v157, v149, 0x3722, -v154
	v_add_f16_e32 v144, v152, v144
	v_mul_f16_e32 v152, 0xbbb2, v156
	v_add_f16_e32 v96, v96, v101
	v_add_f16_e32 v97, v97, v59
	;; [unrolled: 1-line block ×3, first 2 shown]
	v_mul_f16_e32 v155, 0x3bf7, v156
	v_fma_f16 v156, v149, 0xb461, -v152
	v_add_f16_e32 v96, v96, v106
	v_add_f16_e32 v97, v97, v63
	v_fmac_f16_e32 v159, 0xbbdd, v149
	v_add_f16_e32 v151, v157, v151
	v_fmac_f16_e32 v154, 0x3722, v149
	v_fmac_f16_e32 v152, 0xb461, v149
	v_fma_f16 v157, v149, 0x2de8, -v155
	v_fmac_f16_e32 v155, 0x2de8, v149
	v_add_f16_e32 v149, v156, v153
	v_and_b32_e32 v153, 0xffff, v118
	v_mov_b32_e32 v118, 1
	v_add_f16_e32 v96, v96, v110
	v_add_f16_e32 v97, v97, v68
	;; [unrolled: 1-line block ×3, first 2 shown]
	v_mad_u32_u24 v152, 0xee, v153, 0
	v_lshlrev_b32_sdwa v117, v118, v117 dst_sel:DWORD dst_unused:UNUSED_PAD src0_sel:DWORD src1_sel:BYTE_0
	v_add_f16_e32 v153, v96, v114
	v_add_f16_e32 v97, v97, v72
	;; [unrolled: 1-line block ×4, first 2 shown]
	v_add3_u32 v96, v152, v117, v0
	v_add_f16_e32 v117, v153, v115
	v_add_f16_e32 v97, v97, v78
	;; [unrolled: 1-line block ×5, first 2 shown]
	ds_write_b16 v96, v117
	v_lshlrev_b32_sdwa v117, v118, v119 dst_sel:DWORD dst_unused:UNUSED_PAD src0_sel:DWORD src1_sel:BYTE_0
	v_add_f16_e32 v119, v97, v84
	ds_write_b16 v96, v123 offset:14
	ds_write_b16 v96, v124 offset:28
	;; [unrolled: 1-line block ×7, first 2 shown]
	v_add3_u32 v97, v116, v117, v0
	v_add_f16_e32 v116, v119, v87
	ds_write_b16 v96, v134 offset:112
	ds_write_b16 v96, v135 offset:126
	;; [unrolled: 1-line block ×9, first 2 shown]
	ds_write_b16 v97, v116
	ds_write_b16 v97, v137 offset:14
	ds_write_b16 v97, v140 offset:28
	ds_write_b16 v97, v141 offset:42
	ds_write_b16 v97, v145 offset:56
	ds_write_b16 v97, v147 offset:70
	ds_write_b16 v97, v151 offset:84
	ds_write_b16 v97, v149 offset:98
	ds_write_b16 v97, v150 offset:112
	ds_write_b16 v97, v142 offset:126
	ds_write_b16 v97, v146 offset:140
	ds_write_b16 v97, v148 offset:154
	ds_write_b16 v97, v144 offset:168
	ds_write_b16 v97, v143 offset:182
	ds_write_b16 v97, v139 offset:196
	ds_write_b16 v97, v136 offset:210
	ds_write_b16 v97, v138 offset:224
	s_and_saveexec_b32 s1, s0
	s_cbranch_execz .LBB0_18
; %bb.17:
	v_sub_f16_e32 v132, v43, v41
	v_add_f16_e32 v124, v46, v49
	v_sub_f16_e32 v130, v37, v39
	v_add_f16_e32 v122, v44, v45
	v_sub_f16_e32 v131, v33, v36
	v_mul_f16_e32 v134, 0xb1e1, v132
	v_add_f16_e32 v123, v38, v42
	v_mul_f16_e32 v135, 0x35c8, v130
	v_sub_f16_e32 v128, v24, v26
	v_mul_f16_e32 v136, 0xb836, v131
	v_fmamk_f16 v146, v124, 0xbbdd, v134
	v_fma_f16 v134, v124, 0xbbdd, -v134
	v_fmamk_f16 v147, v122, 0x3b76, v135
	v_add_f16_e32 v120, v34, v35
	v_mul_f16_e32 v137, 0x3964, v128
	v_add_f16_e32 v146, v51, v146
	v_mul_f16_e32 v142, 0xb836, v132
	v_fmamk_f16 v148, v123, 0xbacd, v136
	v_fma_f16 v135, v122, 0x3b76, -v135
	v_add_f16_e32 v134, v51, v134
	v_add_f16_e32 v146, v147, v146
	v_sub_f16_e32 v129, v13, v18
	v_mul_f16_e32 v143, 0x3b29, v130
	v_fmamk_f16 v149, v120, 0x39e9, v137
	v_fma_f16 v136, v123, 0xbacd, -v136
	v_add_f16_e32 v146, v148, v146
	v_fmamk_f16 v147, v124, 0xbacd, v142
	v_add_f16_e32 v134, v135, v134
	v_add_f16_e32 v116, v51, v46
	;; [unrolled: 1-line block ×3, first 2 shown]
	v_sub_f16_e32 v126, v9, v10
	v_mul_f16_e32 v138, 0xba62, v129
	v_mul_f16_e32 v144, 0xbbf7, v131
	v_fma_f16 v137, v120, 0x39e9, -v137
	v_add_f16_e32 v135, v149, v146
	v_fmamk_f16 v146, v122, 0x3722, v143
	v_add_f16_e32 v147, v51, v147
	v_add_f16_e32 v134, v136, v134
	;; [unrolled: 1-line block ×4, first 2 shown]
	v_sub_f16_e32 v127, v5, v6
	v_mul_f16_e32 v139, 0x3b29, v126
	v_mul_f16_e32 v145, 0x3a62, v128
	v_fmamk_f16 v150, v121, 0xb8d2, v138
	v_fma_f16 v138, v121, 0xb8d2, -v138
	v_fmamk_f16 v136, v123, 0x2de8, v144
	v_add_f16_e32 v146, v146, v147
	v_add_f16_e32 v134, v137, v134
	;; [unrolled: 1-line block ×4, first 2 shown]
	v_sub_f16_e32 v125, v3, v4
	v_mul_f16_e32 v140, 0xbbb2, v127
	v_fmamk_f16 v151, v117, 0x3722, v139
	v_fma_f16 v139, v117, 0x3722, -v139
	v_add_f16_e32 v135, v150, v135
	v_fmamk_f16 v137, v120, 0xb8d2, v145
	v_add_f16_e32 v136, v136, v146
	v_add_f16_e32 v134, v138, v134
	v_mul_f16_e32 v138, 0xb5c8, v129
	v_add_f16_e32 v133, v116, v34
	v_add_f16_e32 v116, v7, v8
	v_mul_f16_e32 v141, 0x3bf7, v125
	v_fmamk_f16 v152, v119, 0xb461, v140
	v_add_f16_e32 v135, v151, v135
	v_add_f16_e32 v134, v139, v134
	v_fma_f16 v139, v119, 0xb461, -v140
	v_add_f16_e32 v136, v137, v136
	v_fmamk_f16 v137, v121, 0x3b76, v138
	v_mul_f16_e32 v140, 0xb1e1, v126
	v_add_f16_e32 v135, v152, v135
	v_fmamk_f16 v146, v116, 0x2de8, v141
	v_fma_f16 v142, v124, 0xbacd, -v142
	v_add_f16_e32 v134, v139, v134
	v_add_f16_e32 v136, v137, v136
	v_fmamk_f16 v137, v117, 0xbbdd, v140
	v_mul_f16_e32 v139, 0x3964, v127
	v_add_f16_e32 v135, v146, v135
	v_add_f16_e32 v142, v51, v142
	v_fma_f16 v143, v122, 0x3722, -v143
	v_fma_f16 v141, v116, 0x2de8, -v141
	v_add_f16_e32 v136, v137, v136
	v_fmamk_f16 v137, v119, 0x39e9, v139
	v_mul_f16_e32 v146, 0xba62, v132
	v_add_f16_e32 v142, v143, v142
	v_fma_f16 v143, v123, 0x2de8, -v144
	v_add_f16_e32 v134, v141, v134
	v_add_f16_e32 v136, v137, v136
	v_fmamk_f16 v137, v124, 0xb8d2, v146
	v_mul_f16_e32 v141, 0x3bb2, v130
	v_add_f16_e32 v142, v143, v142
	v_fma_f16 v143, v120, 0xb8d2, -v145
	v_mul_f16_e32 v144, 0xbbb2, v125
	v_add_f16_e32 v137, v51, v137
	v_fmamk_f16 v145, v122, 0xb461, v141
	v_mul_f16_e32 v147, 0xb5c8, v131
	v_add_f16_e32 v142, v143, v142
	v_fma_f16 v138, v121, 0x3b76, -v138
	v_fmamk_f16 v143, v116, 0xb461, v144
	v_add_f16_e32 v137, v145, v137
	v_fmamk_f16 v145, v123, 0x3b76, v147
	v_mul_f16_e32 v148, 0xb836, v128
	v_add_f16_e32 v138, v138, v142
	v_fma_f16 v140, v117, 0xbbdd, -v140
	v_add_f16_e32 v136, v143, v136
	v_add_f16_e32 v137, v145, v137
	v_fmamk_f16 v142, v120, 0xbacd, v148
	v_mul_f16_e32 v143, 0x3bf7, v129
	v_add_f16_e32 v138, v140, v138
	v_fma_f16 v140, v124, 0xb8d2, -v146
	v_fma_f16 v139, v119, 0x39e9, -v139
	v_add_f16_e32 v137, v142, v137
	v_fmamk_f16 v142, v121, 0x2de8, v143
	v_mul_f16_e32 v145, 0xb964, v126
	v_add_f16_e32 v140, v51, v140
	v_fma_f16 v141, v122, 0xb461, -v141
	v_add_f16_e32 v138, v139, v138
	v_add_f16_e32 v137, v142, v137
	v_fmamk_f16 v139, v117, 0x39e9, v145
	v_mul_f16_e32 v142, 0xb1e1, v127
	v_add_f16_e32 v140, v141, v140
	v_fma_f16 v141, v123, 0x3b76, -v147
	v_fma_f16 v144, v116, 0xb461, -v144
	v_add_f16_e32 v137, v139, v137
	v_fmamk_f16 v139, v119, 0xbbdd, v142
	v_mul_f16_e32 v146, 0xbbb2, v132
	v_add_f16_e32 v140, v141, v140
	v_fma_f16 v141, v120, 0xbacd, -v148
	v_add_f16_e32 v138, v144, v138
	v_add_f16_e32 v137, v139, v137
	v_fmamk_f16 v139, v124, 0xb461, v146
	v_mul_f16_e32 v144, 0x3836, v130
	v_add_f16_e32 v140, v141, v140
	v_fma_f16 v141, v121, 0x2de8, -v143
	v_mul_f16_e32 v143, 0x3b29, v125
	v_add_f16_e32 v139, v51, v139
	v_fmamk_f16 v147, v122, 0xbacd, v144
	v_mul_f16_e32 v148, 0x3964, v131
	v_add_f16_e32 v140, v141, v140
	v_fma_f16 v141, v117, 0x39e9, -v145
	v_fmamk_f16 v145, v116, 0x3722, v143
	v_add_f16_e32 v139, v147, v139
	v_fmamk_f16 v147, v123, 0x39e9, v148
	v_mul_f16_e32 v149, 0xbb29, v128
	v_add_f16_e32 v140, v141, v140
	v_fma_f16 v141, v119, 0xbbdd, -v142
	v_add_f16_e32 v137, v145, v137
	v_add_f16_e32 v139, v147, v139
	v_fmamk_f16 v142, v120, 0x3722, v149
	v_mul_f16_e32 v145, 0xb1e1, v129
	v_add_f16_e32 v140, v141, v140
	v_fma_f16 v141, v116, 0x3722, -v143
	v_fma_f16 v143, v124, 0xb461, -v146
	v_add_f16_e32 v139, v142, v139
	v_fmamk_f16 v142, v121, 0xbbdd, v145
	v_mul_f16_e32 v146, 0x3bf7, v126
	v_add_f16_e32 v140, v141, v140
	v_add_f16_e32 v141, v51, v143
	v_fma_f16 v143, v122, 0xbacd, -v144
	v_add_f16_e32 v139, v142, v139
	v_fmamk_f16 v142, v117, 0x2de8, v146
	v_mul_f16_e32 v144, 0xbbf7, v132
	v_mul_f16_e32 v151, 0x3bb2, v131
	v_add_f16_e32 v141, v143, v141
	v_fma_f16 v143, v123, 0x39e9, -v148
	v_add_f16_e32 v139, v142, v139
	v_fmamk_f16 v142, v124, 0x2de8, v144
	v_mul_f16_e32 v148, 0xb1e1, v130
	v_mul_f16_e32 v147, 0xb5c8, v127
	v_add_f16_e32 v141, v143, v141
	v_fma_f16 v143, v120, 0x3722, -v149
	v_add_f16_e32 v142, v51, v142
	v_fmamk_f16 v149, v122, 0xbbdd, v148
	v_fmamk_f16 v150, v119, 0x3b76, v147
	v_fma_f16 v144, v124, 0x2de8, -v144
	v_add_f16_e32 v141, v143, v141
	v_fma_f16 v143, v121, 0xbbdd, -v145
	v_add_f16_e32 v142, v149, v142
	v_fmamk_f16 v145, v123, 0xb461, v151
	v_mul_f16_e32 v149, 0x35c8, v128
	v_add_f16_e32 v139, v150, v139
	v_add_f16_e32 v141, v143, v141
	v_fma_f16 v143, v117, 0x2de8, -v146
	v_add_f16_e32 v142, v145, v142
	v_fmamk_f16 v145, v120, 0x3b76, v149
	v_mul_f16_e32 v146, 0xbb29, v129
	v_mul_f16_e32 v150, 0xba62, v125
	v_add_f16_e32 v141, v143, v141
	v_fma_f16 v143, v119, 0x3b76, -v147
	v_add_f16_e32 v142, v145, v142
	v_fmamk_f16 v145, v121, 0x3722, v146
	v_mul_f16_e32 v147, 0xb836, v126
	v_fmamk_f16 v152, v116, 0xb8d2, v150
	v_add_f16_e32 v141, v143, v141
	v_add_f16_e32 v144, v51, v144
	;; [unrolled: 1-line block ×3, first 2 shown]
	v_fmamk_f16 v143, v117, 0xbacd, v147
	v_mul_f16_e32 v145, 0x3a62, v127
	v_add_f16_e32 v139, v152, v139
	v_fma_f16 v148, v122, 0xbbdd, -v148
	v_fma_f16 v150, v116, 0xb8d2, -v150
	v_add_f16_e32 v142, v143, v142
	v_fmamk_f16 v143, v119, 0xb8d2, v145
	v_mul_f16_e32 v152, 0xbb29, v132
	v_add_f16_e32 v144, v148, v144
	v_fma_f16 v148, v123, 0xb461, -v151
	v_add_f16_e32 v141, v150, v141
	v_add_f16_e32 v142, v143, v142
	v_fmamk_f16 v143, v124, 0x3722, v152
	v_mul_f16_e32 v150, 0xba62, v130
	v_add_f16_e32 v144, v148, v144
	v_fma_f16 v148, v120, 0x3b76, -v149
	v_mul_f16_e32 v149, 0x3964, v125
	v_add_f16_e32 v143, v51, v143
	v_fmamk_f16 v151, v122, 0xb8d2, v150
	v_mul_f16_e32 v153, 0x31e1, v131
	v_add_f16_e32 v144, v148, v144
	v_fma_f16 v146, v121, 0x3722, -v146
	v_fmamk_f16 v148, v116, 0x39e9, v149
	v_add_f16_e32 v143, v151, v143
	v_fmamk_f16 v151, v123, 0xbbdd, v153
	v_mul_f16_e32 v154, 0x3bb2, v128
	v_add_f16_e32 v144, v146, v144
	v_fma_f16 v146, v117, 0xbacd, -v147
	v_add_f16_e32 v142, v148, v142
	v_add_f16_e32 v143, v151, v143
	v_fmamk_f16 v147, v120, 0xb461, v154
	v_mul_f16_e32 v148, 0x3964, v129
	v_add_f16_e32 v144, v146, v144
	v_fma_f16 v146, v124, 0x3722, -v152
	v_fma_f16 v145, v119, 0xb8d2, -v145
	v_add_f16_e32 v143, v147, v143
	v_fmamk_f16 v147, v121, 0x39e9, v148
	v_mul_f16_e32 v151, 0xb5c8, v126
	v_add_f16_e32 v146, v51, v146
	v_fma_f16 v150, v122, 0xb8d2, -v150
	v_add_f16_e32 v144, v145, v144
	v_add_f16_e32 v143, v147, v143
	v_fmamk_f16 v145, v117, 0x3b76, v151
	v_mul_f16_e32 v147, 0xbbf7, v127
	v_add_f16_e32 v146, v150, v146
	v_fma_f16 v150, v123, 0xbbdd, -v153
	v_fma_f16 v149, v116, 0x39e9, -v149
	v_add_f16_e32 v143, v145, v143
	v_mul_f16_e32 v145, 0xb964, v132
	v_fmamk_f16 v152, v119, 0x2de8, v147
	v_add_f16_e32 v146, v150, v146
	v_fma_f16 v150, v120, 0xb461, -v154
	v_add_f16_e32 v144, v149, v144
	v_fmamk_f16 v149, v124, 0x39e9, v145
	v_mul_f16_e32 v153, 0xbbf7, v130
	v_add_f16_e32 v143, v152, v143
	v_add_f16_e32 v146, v150, v146
	v_fma_f16 v148, v121, 0x39e9, -v148
	v_add_f16_e32 v149, v51, v149
	v_fmamk_f16 v150, v122, 0x2de8, v153
	v_mul_f16_e32 v152, 0xba62, v131
	v_mul_f16_e32 v154, 0xb836, v125
	v_add_f16_e32 v146, v148, v146
	v_fma_f16 v148, v117, 0x3b76, -v151
	v_add_f16_e32 v149, v150, v149
	v_fmamk_f16 v150, v123, 0xb8d2, v152
	v_mul_f16_e32 v151, 0xb1e1, v128
	v_fma_f16 v147, v119, 0x2de8, -v147
	v_add_f16_e32 v146, v148, v146
	v_add_f16_e32 v133, v133, v25
	;; [unrolled: 1-line block ×3, first 2 shown]
	v_fmamk_f16 v149, v120, 0xbbdd, v151
	v_mul_f16_e32 v150, 0x3836, v129
	v_fmamk_f16 v155, v116, 0xbacd, v154
	v_add_f16_e32 v146, v147, v146
	v_add_f16_e32 v133, v133, v17
	v_add_f16_e32 v147, v149, v148
	v_fmamk_f16 v148, v121, 0xbacd, v150
	v_mul_f16_e32 v149, 0x3bb2, v126
	v_add_f16_e32 v143, v155, v143
	v_mul_f16_e32 v155, 0x3b29, v127
	v_add_f16_e32 v133, v133, v11
	v_add_f16_e32 v147, v148, v147
	v_fmamk_f16 v148, v117, 0xb461, v149
	v_mul_f16_e32 v132, 0xb5c8, v132
	v_mul_f16_e32 v130, 0xb964, v130
	v_add_f16_e32 v133, v133, v7
	v_fma_f16 v145, v124, 0x39e9, -v145
	v_add_f16_e32 v147, v148, v147
	v_fmamk_f16 v148, v119, 0x3722, v155
	v_mul_f16_e32 v131, 0xbb29, v131
	v_add_f16_e32 v133, v133, v8
	v_add_f16_e32 v145, v51, v145
	v_fma_f16 v153, v122, 0x2de8, -v153
	v_add_f16_e32 v147, v148, v147
	v_fma_f16 v148, v124, 0x3b76, -v132
	v_fmamk_f16 v124, v124, 0x3b76, v132
	v_add_f16_e32 v133, v133, v12
	v_mul_f16_e32 v128, 0xbbf7, v128
	v_add_f16_e32 v145, v153, v145
	v_add_f16_e32 v132, v51, v148
	v_fma_f16 v148, v122, 0x39e9, -v130
	v_add_f16_e32 v51, v51, v124
	v_fmamk_f16 v122, v122, 0x39e9, v130
	v_fma_f16 v130, v123, 0x3722, -v131
	v_fma_f16 v152, v123, 0xb8d2, -v152
	v_add_f16_e32 v124, v148, v132
	v_add_f16_e32 v133, v133, v19
	;; [unrolled: 1-line block ×3, first 2 shown]
	v_fmamk_f16 v122, v123, 0x3722, v131
	v_mul_f16_e32 v129, 0xbbb2, v129
	v_add_f16_e32 v123, v130, v124
	v_fma_f16 v124, v120, 0x2de8, -v128
	v_add_f16_e32 v145, v152, v145
	v_fma_f16 v151, v120, 0xbbdd, -v151
	v_add_f16_e32 v133, v133, v32
	v_add_f16_e32 v51, v122, v51
	v_fmamk_f16 v120, v120, 0x2de8, v128
	v_add_f16_e32 v122, v124, v123
	v_fma_f16 v123, v121, 0xb461, -v129
	v_mul_f16_e32 v124, 0xba62, v126
	v_add_f16_e32 v145, v151, v145
	v_fma_f16 v150, v121, 0xbacd, -v150
	v_add_f16_e32 v133, v133, v35
	v_add_f16_e32 v51, v120, v51
	v_fmamk_f16 v120, v121, 0xb461, v129
	v_add_f16_e32 v121, v123, v122
	v_fma_f16 v122, v117, 0xb8d2, -v124
	v_mul_f16_e32 v123, 0xb836, v127
	;; [unrolled: 8-line block ×3, first 2 shown]
	v_mul_f16_e32 v153, 0x35c8, v125
	v_add_f16_e32 v126, v130, v132
	v_fma_f16 v127, v119, 0x3722, -v155
	v_add_f16_e32 v133, v133, v45
	v_add_f16_e32 v51, v117, v51
	v_fmamk_f16 v117, v119, 0xbacd, v123
	v_lshlrev_b32_sdwa v118, v118, v2 dst_sel:DWORD dst_unused:UNUSED_PAD src0_sel:DWORD src1_sel:BYTE_0
	v_add_f16_e32 v119, v121, v120
	v_fma_f16 v120, v116, 0xbbdd, -v124
	v_add_f16_e32 v122, v127, v126
	v_fma_f16 v121, v116, 0x3b76, -v153
	v_fma_f16 v154, v116, 0xbacd, -v154
	v_add_f16_e32 v133, v133, v49
	v_fmamk_f16 v152, v116, 0x3b76, v153
	v_add_f16_e32 v51, v117, v51
	v_fmamk_f16 v116, v116, 0xbbdd, v124
	v_add3_u32 v117, 0, v118, v0
	v_add_f16_e32 v118, v120, v119
	v_add_f16_e32 v119, v121, v122
	;; [unrolled: 1-line block ×5, first 2 shown]
	ds_write_b16 v117, v133 offset:952
	ds_write_b16 v117, v118 offset:966
	;; [unrolled: 1-line block ×17, first 2 shown]
.LBB0_18:
	s_or_b32 exec_lo, exec_lo, s1
	v_add_f16_e32 v51, v66, v111
	v_sub_f16_e32 v113, v113, v115
	v_add_f16_e32 v111, v111, v107
	v_add_f16_e32 v115, v109, v108
	v_sub_f16_e32 v112, v112, v114
	v_add_f16_e32 v51, v51, v109
	v_mul_f16_e32 v109, 0xb5c8, v113
	v_mul_f16_e32 v114, 0xb964, v113
	;; [unrolled: 1-line block ×4, first 2 shown]
	v_add_f16_e32 v51, v51, v103
	v_mul_f16_e32 v118, 0xbbb2, v113
	v_mul_f16_e32 v119, 0xba62, v113
	v_mul_f16_e32 v120, 0xb836, v113
	v_mul_f16_e32 v113, 0xb1e1, v113
	v_add_f16_e32 v51, v51, v99
	v_mul_f16_e32 v121, 0xb964, v112
	v_mul_f16_e32 v122, 0xbbf7, v112
	v_fmamk_f16 v126, v111, 0x3b76, v109
	v_fma_f16 v109, v111, 0x3b76, -v109
	v_add_f16_e32 v51, v51, v92
	v_fmamk_f16 v127, v111, 0x39e9, v114
	v_fma_f16 v114, v111, 0x39e9, -v114
	v_mul_f16_e32 v124, 0xb1e1, v112
	v_mul_f16_e32 v125, 0x3836, v112
	v_add_f16_e32 v51, v51, v88
	v_fmamk_f16 v128, v111, 0x3722, v116
	v_fma_f16 v116, v111, 0x3722, -v116
	v_fmamk_f16 v129, v111, 0x2de8, v117
	v_fma_f16 v117, v111, 0x2de8, -v117
	v_add_f16_e32 v51, v51, v85
	v_fmamk_f16 v130, v111, 0xb461, v118
	v_fma_f16 v118, v111, 0xb461, -v118
	v_fmamk_f16 v131, v111, 0xb8d2, v119
	v_fma_f16 v119, v111, 0xb8d2, -v119
	;; [unrolled: 5-line block ×4, first 2 shown]
	v_add_f16_e32 v51, v51, v86
	v_add_f16_e32 v126, v66, v126
	;; [unrolled: 1-line block ×23, first 2 shown]
	v_mul_f16_e32 v122, 0x3bb2, v112
	v_mul_f16_e32 v123, 0xba62, v112
	v_add_f16_e32 v51, v51, v108
	v_add_f16_e32 v108, v121, v109
	v_fma_f16 v121, v115, 0xbbdd, -v124
	v_sub_f16_e32 v105, v105, v110
	v_fmamk_f16 v135, v115, 0xb8d2, v123
	v_add_f16_e32 v107, v51, v107
	v_fmamk_f16 v51, v115, 0xbbdd, v124
	v_fma_f16 v124, v115, 0xbacd, -v125
	v_add_f16_e32 v117, v121, v117
	v_fmamk_f16 v121, v115, 0xb461, v122
	v_fma_f16 v122, v115, 0xb461, -v122
	v_fma_f16 v123, v115, 0xb8d2, -v123
	v_add_f16_e32 v118, v124, v118
	v_mul_f16_e32 v124, 0x3b29, v112
	v_mul_f16_e32 v112, 0x35c8, v112
	v_add_f16_e32 v119, v122, v119
	v_add_f16_e32 v103, v103, v104
	v_mul_f16_e32 v104, 0xbb29, v105
	v_fmamk_f16 v110, v115, 0x3722, v124
	v_fma_f16 v122, v115, 0x3722, -v124
	v_fmamk_f16 v124, v115, 0x3b76, v112
	v_fma_f16 v112, v115, 0x3b76, -v112
	v_add_f16_e32 v116, v123, v116
	v_fmamk_f16 v123, v115, 0xbacd, v125
	v_add_f16_e32 v115, v122, v120
	v_add_f16_e32 v120, v124, v133
	v_fmamk_f16 v122, v103, 0x3722, v104
	v_mul_f16_e32 v124, 0xba62, v105
	v_add_f16_e32 v66, v112, v66
	v_fma_f16 v104, v103, 0x3722, -v104
	v_mul_f16_e32 v112, 0x31e1, v105
	v_add_f16_e32 v111, v122, v111
	v_fmamk_f16 v122, v103, 0xb8d2, v124
	v_fma_f16 v124, v103, 0xb8d2, -v124
	v_add_f16_e32 v104, v104, v108
	v_fmamk_f16 v108, v103, 0xbbdd, v112
	v_mul_f16_e32 v125, 0x3bb2, v105
	v_fma_f16 v112, v103, 0xbbdd, -v112
	v_add_f16_e32 v109, v134, v127
	v_add_f16_e32 v114, v135, v128
	;; [unrolled: 1-line block ×3, first 2 shown]
	v_fma_f16 v124, v103, 0xb461, -v125
	v_add_f16_e32 v112, v112, v116
	v_mul_f16_e32 v116, 0xb5c8, v105
	v_add_f16_e32 v51, v51, v129
	v_add_f16_e32 v109, v122, v109
	;; [unrolled: 1-line block ×3, first 2 shown]
	v_fmamk_f16 v114, v103, 0xb461, v125
	v_mul_f16_e32 v122, 0x3964, v105
	v_add_f16_e32 v117, v124, v117
	v_fmamk_f16 v124, v103, 0x3b76, v116
	v_mul_f16_e32 v125, 0xbbf7, v105
	v_fma_f16 v116, v103, 0x3b76, -v116
	v_mul_f16_e32 v105, 0xb836, v105
	v_sub_f16_e32 v102, v102, v106
	v_add_f16_e32 v51, v114, v51
	v_fmamk_f16 v114, v103, 0x39e9, v122
	v_fma_f16 v122, v103, 0x39e9, -v122
	v_add_f16_e32 v116, v116, v119
	v_fma_f16 v106, v103, 0x2de8, -v125
	v_fmamk_f16 v119, v103, 0xbacd, v105
	v_add_f16_e32 v99, v99, v100
	v_mul_f16_e32 v100, 0xbbf7, v102
	v_add_f16_e32 v118, v122, v118
	v_fmamk_f16 v122, v103, 0x2de8, v125
	v_add_f16_e32 v106, v106, v115
	v_fma_f16 v103, v103, 0xbacd, -v105
	v_add_f16_e32 v105, v119, v120
	v_mul_f16_e32 v115, 0xb1e1, v102
	v_fmamk_f16 v119, v99, 0x2de8, v100
	v_fma_f16 v100, v99, 0x2de8, -v100
	v_add_f16_e32 v66, v103, v66
	v_mul_f16_e32 v103, 0x3bb2, v102
	v_fmamk_f16 v120, v99, 0xbbdd, v115
	v_add_f16_e32 v111, v119, v111
	v_add_f16_e32 v100, v100, v104
	v_fma_f16 v104, v99, 0xbbdd, -v115
	v_fmamk_f16 v115, v99, 0xb461, v103
	v_mul_f16_e32 v119, 0x35c8, v102
	v_fma_f16 v103, v99, 0xb461, -v103
	v_add_f16_e32 v109, v120, v109
	v_add_f16_e32 v104, v104, v113
	v_mul_f16_e32 v113, 0xbb29, v102
	v_add_f16_e32 v108, v115, v108
	v_fmamk_f16 v115, v99, 0x3b76, v119
	v_add_f16_e32 v103, v103, v112
	v_fma_f16 v112, v99, 0x3b76, -v119
	v_mul_f16_e32 v119, 0xb836, v102
	v_fmamk_f16 v120, v99, 0x3722, v113
	v_fma_f16 v113, v99, 0x3722, -v113
	v_add_f16_e32 v110, v110, v132
	v_add_f16_e32 v112, v112, v117
	v_fma_f16 v117, v99, 0xbacd, -v119
	v_sub_f16_e32 v98, v98, v101
	v_add_f16_e32 v113, v113, v118
	v_mul_f16_e32 v118, 0x3a62, v102
	v_mul_f16_e32 v102, 0x3964, v102
	v_add_f16_e32 v110, v122, v110
	v_add_f16_e32 v51, v115, v51
	v_fmamk_f16 v115, v99, 0xbacd, v119
	v_add_f16_e32 v116, v117, v116
	v_fmamk_f16 v101, v99, 0xb8d2, v118
	v_fma_f16 v117, v99, 0xb8d2, -v118
	v_fmamk_f16 v118, v99, 0x39e9, v102
	v_add_f16_e32 v92, v92, v94
	v_mul_f16_e32 v94, 0xbbb2, v98
	v_fma_f16 v99, v99, 0x39e9, -v102
	v_add_f16_e32 v101, v101, v110
	v_add_f16_e32 v102, v118, v105
	v_mul_f16_e32 v110, 0x3836, v98
	v_fmamk_f16 v105, v92, 0xb461, v94
	v_fma_f16 v94, v92, 0xb461, -v94
	v_add_f16_e32 v66, v99, v66
	v_mul_f16_e32 v99, 0x3964, v98
	v_add_f16_e32 v106, v117, v106
	v_add_f16_e32 v105, v105, v111
	v_fmamk_f16 v111, v92, 0xbacd, v110
	v_add_f16_e32 v94, v94, v100
	v_fma_f16 v100, v92, 0xbacd, -v110
	v_fmamk_f16 v110, v92, 0x39e9, v99
	v_mul_f16_e32 v117, 0xbb29, v98
	v_add_f16_e32 v123, v123, v130
	v_fma_f16 v99, v92, 0x39e9, -v99
	v_add_f16_e32 v100, v100, v104
	v_add_f16_e32 v104, v110, v108
	v_fmamk_f16 v108, v92, 0x3722, v117
	v_mul_f16_e32 v110, 0xb1e1, v98
	v_add_f16_e32 v114, v114, v123
	v_sub_f16_e32 v93, v93, v95
	v_add_f16_e32 v109, v111, v109
	v_add_f16_e32 v51, v108, v51
	v_fmamk_f16 v108, v92, 0xbbdd, v110
	v_fma_f16 v110, v92, 0xbbdd, -v110
	v_add_f16_e32 v114, v120, v114
	v_add_f16_e32 v99, v99, v103
	v_fma_f16 v103, v92, 0x3722, -v117
	v_mul_f16_e32 v111, 0x3bf7, v98
	v_add_f16_e32 v110, v110, v113
	v_mul_f16_e32 v113, 0xb5c8, v98
	v_mul_f16_e32 v95, 0xba62, v98
	v_add_f16_e32 v88, v88, v90
	v_mul_f16_e32 v90, 0xba62, v93
	v_add_f16_e32 v103, v103, v112
	v_fmamk_f16 v98, v92, 0x3b76, v113
	v_fma_f16 v113, v92, 0x3b76, -v113
	v_fmamk_f16 v112, v92, 0x2de8, v111
	v_fma_f16 v111, v92, 0x2de8, -v111
	v_add_f16_e32 v108, v108, v114
	v_fmamk_f16 v114, v92, 0xb8d2, v95
	v_add_f16_e32 v98, v98, v101
	v_fma_f16 v92, v92, 0xb8d2, -v95
	v_add_f16_e32 v95, v113, v106
	v_fmamk_f16 v101, v88, 0xb8d2, v90
	v_mul_f16_e32 v106, 0x3bb2, v93
	v_fma_f16 v90, v88, 0xb8d2, -v90
	v_add_f16_e32 v66, v92, v66
	v_sub_f16_e32 v89, v89, v91
	v_add_f16_e32 v92, v101, v105
	v_fmamk_f16 v105, v88, 0xb461, v106
	v_fma_f16 v106, v88, 0xb461, -v106
	v_add_f16_e32 v90, v90, v94
	v_mul_f16_e32 v94, 0xb836, v93
	v_mul_f16_e32 v101, 0xb5c8, v93
	v_add_f16_e32 v105, v105, v109
	v_add_f16_e32 v100, v106, v100
	v_mul_f16_e32 v109, 0x3bf7, v93
	v_fmamk_f16 v106, v88, 0xbacd, v94
	v_fma_f16 v94, v88, 0xbacd, -v94
	v_fmamk_f16 v113, v88, 0x3b76, v101
	v_fma_f16 v101, v88, 0x3b76, -v101
	v_mul_f16_e32 v91, 0x3b29, v93
	v_add_f16_e32 v51, v106, v51
	v_add_f16_e32 v94, v94, v103
	v_fmamk_f16 v103, v88, 0x2de8, v109
	v_fma_f16 v106, v88, 0x2de8, -v109
	v_mul_f16_e32 v109, 0xb1e1, v93
	v_add_f16_e32 v99, v101, v99
	v_mul_f16_e32 v101, 0xb964, v93
	v_add_f16_e32 v103, v103, v108
	v_add_f16_e32 v104, v113, v104
	v_fmamk_f16 v108, v88, 0xbbdd, v109
	v_add_f16_e32 v85, v85, v86
	v_fmamk_f16 v113, v88, 0x39e9, v101
	v_fma_f16 v101, v88, 0x39e9, -v101
	v_mul_f16_e32 v86, 0xb836, v89
	v_add_f16_e32 v93, v108, v98
	v_fma_f16 v98, v88, 0xbbdd, -v109
	v_fmamk_f16 v108, v88, 0x3722, v91
	v_fma_f16 v88, v88, 0x3722, -v91
	v_add_f16_e32 v102, v114, v102
	v_add_f16_e32 v106, v106, v110
	;; [unrolled: 1-line block ×3, first 2 shown]
	v_mul_f16_e32 v95, 0x3b29, v89
	v_fmamk_f16 v98, v85, 0xbacd, v86
	v_add_f16_e32 v66, v88, v66
	v_fma_f16 v86, v85, 0xbacd, -v86
	v_add_f16_e32 v102, v108, v102
	v_fmamk_f16 v88, v85, 0x3722, v95
	v_add_f16_e32 v92, v98, v92
	v_mul_f16_e32 v98, 0xbbf7, v89
	v_fma_f16 v95, v85, 0x3722, -v95
	v_add_f16_e32 v86, v86, v90
	v_add_f16_e32 v90, v88, v105
	v_mul_f16_e32 v88, 0x3a62, v89
	v_fmamk_f16 v105, v85, 0x2de8, v98
	v_add_f16_e32 v95, v95, v100
	v_mul_f16_e32 v100, 0xb5c8, v89
	v_fma_f16 v98, v85, 0x2de8, -v98
	v_fmamk_f16 v108, v85, 0xb8d2, v88
	v_add_f16_e32 v104, v105, v104
	v_fma_f16 v88, v85, 0xb8d2, -v88
	v_fmamk_f16 v105, v85, 0x3b76, v100
	v_fma_f16 v100, v85, 0x3b76, -v100
	v_add_f16_e32 v51, v108, v51
	v_add_f16_e32 v108, v40, v74
	;; [unrolled: 1-line block ×3, first 2 shown]
	v_mul_f16_e32 v99, 0xb1e1, v89
	v_add_f16_e32 v100, v100, v106
	v_add_f16_e32 v94, v88, v94
	;; [unrolled: 1-line block ×3, first 2 shown]
	v_mul_f16_e32 v88, 0x3964, v89
	v_sub_f16_e32 v81, v81, v82
	v_mul_f16_e32 v82, 0xbbb2, v89
	v_add_f16_e32 v76, v76, v77
	v_add_f16_e32 v89, v106, v65
	v_fmamk_f16 v109, v85, 0x39e9, v88
	v_mul_f16_e32 v77, 0xb1e1, v81
	v_add_f16_e32 v103, v105, v103
	v_fmamk_f16 v105, v85, 0xbbdd, v99
	v_add_f16_e32 v89, v89, v61
	v_add_f16_e32 v108, v109, v93
	v_fmamk_f16 v93, v85, 0xb461, v82
	v_fma_f16 v82, v85, 0xb461, -v82
	v_fma_f16 v99, v85, 0xbbdd, -v99
	v_add_f16_e32 v89, v89, v57
	v_fma_f16 v88, v85, 0x39e9, -v88
	v_fmamk_f16 v85, v76, 0xbbdd, v77
	v_add_f16_e32 v66, v82, v66
	v_mul_f16_e32 v82, 0x35c8, v81
	v_fma_f16 v77, v76, 0xbbdd, -v77
	v_add_f16_e32 v89, v89, v53
	v_add_f16_e32 v106, v88, v91
	;; [unrolled: 1-line block ×3, first 2 shown]
	v_mul_f16_e32 v92, 0xb836, v81
	v_fmamk_f16 v91, v76, 0x3b76, v82
	v_fma_f16 v82, v76, 0x3b76, -v82
	v_add_f16_e32 v85, v77, v86
	v_add_f16_e32 v77, v89, v50
	;; [unrolled: 1-line block ×4, first 2 shown]
	v_fmamk_f16 v89, v76, 0xbacd, v92
	v_add_f16_e32 v86, v82, v95
	v_mul_f16_e32 v82, 0x3964, v81
	v_add_f16_e32 v77, v77, v47
	v_add_f16_e32 v121, v124, v121
	;; [unrolled: 1-line block ×5, first 2 shown]
	v_fma_f16 v89, v76, 0xbacd, -v92
	v_fmamk_f16 v92, v76, 0x39e9, v82
	v_add_f16_e32 v77, v77, v48
	v_add_f16_e32 v115, v115, v121
	;; [unrolled: 1-line block ×4, first 2 shown]
	v_mul_f16_e32 v99, 0xba62, v81
	v_add_f16_e32 v93, v92, v51
	v_add_f16_e32 v51, v77, v52
	;; [unrolled: 1-line block ×3, first 2 shown]
	v_fma_f16 v82, v76, 0x39e9, -v82
	v_fmamk_f16 v95, v76, 0xb8d2, v99
	v_mul_f16_e32 v77, 0x3b29, v81
	v_add_f16_e32 v51, v51, v55
	v_add_f16_e32 v110, v113, v112
	;; [unrolled: 1-line block ×4, first 2 shown]
	v_fma_f16 v82, v76, 0xb8d2, -v99
	v_mul_f16_e32 v103, 0xbbb2, v81
	v_add_f16_e32 v51, v51, v60
	v_add_f16_e32 v105, v105, v110
	;; [unrolled: 1-line block ×3, first 2 shown]
	v_fmamk_f16 v98, v76, 0x3722, v77
	v_fma_f16 v77, v76, 0x3722, -v77
	v_add_f16_e32 v94, v82, v100
	v_fmamk_f16 v82, v76, 0xb461, v103
	v_add_f16_e32 v51, v51, v64
	v_add_f16_e32 v99, v98, v105
	;; [unrolled: 1-line block ×3, first 2 shown]
	v_mul_f16_e32 v77, 0x3bf7, v81
	v_add_f16_e32 v100, v82, v108
	v_sub_f16_e32 v82, v83, v87
	v_add_f16_e32 v51, v51, v69
	v_fma_f16 v81, v76, 0xb461, -v103
	v_fmamk_f16 v83, v76, 0x2de8, v77
	v_fma_f16 v76, v76, 0x2de8, -v77
	v_add_f16_e32 v74, v74, v79
	v_mul_f16_e32 v77, 0xb5c8, v82
	v_add_f16_e32 v51, v51, v73
	v_mul_f16_e32 v110, 0xb836, v82
	v_add_f16_e32 v87, v81, v106
	v_add_f16_e32 v102, v83, v102
	;; [unrolled: 1-line block ×3, first 2 shown]
	v_fmamk_f16 v66, v74, 0x3b76, v77
	v_mul_f16_e32 v76, 0xb964, v82
	v_add_f16_e32 v101, v51, v79
	v_fma_f16 v51, v74, 0x3b76, -v77
	v_mul_f16_e32 v77, 0xbb29, v82
	v_mul_f16_e32 v83, 0xbbf7, v82
	v_mul_f16_e32 v105, 0xbbb2, v82
	v_mul_f16_e32 v106, 0xba62, v82
	v_fmamk_f16 v111, v74, 0xbacd, v110
	v_mul_f16_e32 v82, 0xb1e1, v82
	v_sub_f16_e32 v80, v80, v84
	v_fmamk_f16 v79, v74, 0x39e9, v76
	v_fma_f16 v76, v74, 0x39e9, -v76
	v_fmamk_f16 v81, v74, 0x3722, v77
	v_fma_f16 v77, v74, 0x3722, -v77
	;; [unrolled: 2-line block ×5, first 2 shown]
	v_fma_f16 v84, v74, 0xbacd, -v110
	v_add_f16_e32 v110, v40, v111
	v_fmamk_f16 v111, v74, 0xbbdd, v82
	v_add_f16_e32 v71, v71, v73
	v_mul_f16_e32 v73, 0xb964, v80
	v_fma_f16 v74, v74, 0xbbdd, -v82
	v_add_f16_e32 v66, v40, v66
	v_add_f16_e32 v51, v40, v51
	;; [unrolled: 1-line block ×14, first 2 shown]
	v_mul_f16_e32 v111, 0xbbf7, v80
	v_fmamk_f16 v112, v71, 0x39e9, v73
	v_fma_f16 v73, v71, 0x39e9, -v73
	v_add_f16_e32 v40, v40, v74
	v_mul_f16_e32 v74, 0xba62, v80
	v_fmamk_f16 v113, v71, 0x2de8, v111
	v_add_f16_e32 v66, v112, v66
	v_add_f16_e32 v51, v73, v51
	v_fma_f16 v73, v71, 0x2de8, -v111
	v_fmamk_f16 v111, v71, 0xb8d2, v74
	v_mul_f16_e32 v112, 0xb1e1, v80
	v_fma_f16 v74, v71, 0xb8d2, -v74
	v_add_f16_e32 v79, v113, v79
	v_add_f16_e32 v73, v73, v76
	;; [unrolled: 1-line block ×3, first 2 shown]
	v_mul_f16_e32 v81, 0x3836, v80
	v_fmamk_f16 v111, v71, 0xbbdd, v112
	v_add_f16_e32 v74, v74, v77
	v_fma_f16 v77, v71, 0xbbdd, -v112
	v_mul_f16_e32 v112, 0x3bb2, v80
	v_fmamk_f16 v113, v71, 0xbacd, v81
	v_fma_f16 v81, v71, 0xbacd, -v81
	v_sub_f16_e32 v75, v75, v78
	v_add_f16_e32 v77, v77, v83
	v_fmamk_f16 v83, v71, 0xb461, v112
	v_add_f16_e32 v104, v111, v104
	v_add_f16_e32 v81, v81, v105
	v_mul_f16_e32 v105, 0x3b29, v80
	v_mul_f16_e32 v80, 0x35c8, v80
	v_fma_f16 v111, v71, 0xb461, -v112
	v_add_f16_e32 v83, v83, v109
	v_add_f16_e32 v65, v65, v69
	v_fmamk_f16 v78, v71, 0x3722, v105
	v_fma_f16 v105, v71, 0x3722, -v105
	v_fmamk_f16 v109, v71, 0x3b76, v80
	v_mul_f16_e32 v69, 0xbb29, v75
	v_fma_f16 v71, v71, 0x3b76, -v80
	v_add_f16_e32 v78, v78, v110
	v_add_f16_e32 v80, v105, v84
	v_mul_f16_e32 v105, 0xba62, v75
	v_fmamk_f16 v84, v65, 0x3722, v69
	v_add_f16_e32 v40, v71, v40
	v_fma_f16 v69, v65, 0x3722, -v69
	v_mul_f16_e32 v71, 0x31e1, v75
	v_add_f16_e32 v82, v109, v82
	v_add_f16_e32 v66, v84, v66
	v_fmamk_f16 v84, v65, 0xb8d2, v105
	v_add_f16_e32 v51, v69, v51
	v_fmamk_f16 v69, v65, 0xbbdd, v71
	v_mul_f16_e32 v109, 0x3bb2, v75
	v_fma_f16 v105, v65, 0xb8d2, -v105
	v_add_f16_e32 v79, v84, v79
	v_mul_f16_e32 v84, 0x3964, v75
	v_add_f16_e32 v69, v69, v76
	v_fmamk_f16 v76, v65, 0xb461, v109
	v_add_f16_e32 v73, v105, v73
	v_fma_f16 v71, v65, 0xbbdd, -v71
	v_fma_f16 v105, v65, 0xb461, -v109
	v_mul_f16_e32 v109, 0xbbf7, v75
	v_add_f16_e32 v76, v76, v104
	v_fmamk_f16 v104, v65, 0x39e9, v84
	v_fma_f16 v84, v65, 0x39e9, -v84
	v_add_f16_e32 v71, v71, v74
	v_mul_f16_e32 v74, 0xb5c8, v75
	v_mul_f16_e32 v75, 0xb836, v75
	v_sub_f16_e32 v70, v70, v72
	v_add_f16_e32 v81, v84, v81
	v_fmamk_f16 v84, v65, 0x2de8, v109
	v_fma_f16 v72, v65, 0x2de8, -v109
	v_add_f16_e32 v61, v61, v64
	v_mul_f16_e32 v64, 0xbbf7, v70
	v_add_f16_e32 v77, v105, v77
	v_add_f16_e32 v78, v84, v78
	v_fmamk_f16 v84, v65, 0xbacd, v75
	v_fmamk_f16 v105, v65, 0x3b76, v74
	v_fma_f16 v74, v65, 0x3b76, -v74
	v_add_f16_e32 v72, v72, v80
	v_fma_f16 v65, v65, 0xbacd, -v75
	v_add_f16_e32 v75, v84, v82
	v_mul_f16_e32 v80, 0xb1e1, v70
	v_fmamk_f16 v82, v61, 0x2de8, v64
	v_fma_f16 v64, v61, 0x2de8, -v64
	v_add_f16_e32 v40, v65, v40
	v_mul_f16_e32 v65, 0x3bb2, v70
	v_fmamk_f16 v84, v61, 0xbbdd, v80
	v_add_f16_e32 v66, v82, v66
	v_add_f16_e32 v51, v64, v51
	v_fma_f16 v64, v61, 0xbbdd, -v80
	v_fmamk_f16 v80, v61, 0xb461, v65
	v_mul_f16_e32 v82, 0x35c8, v70
	v_fma_f16 v65, v61, 0xb461, -v65
	v_add_f16_e32 v106, v111, v106
	v_add_f16_e32 v64, v64, v73
	v_mul_f16_e32 v73, 0xbb29, v70
	v_add_f16_e32 v79, v84, v79
	v_add_f16_e32 v69, v80, v69
	v_fmamk_f16 v80, v61, 0x3b76, v82
	v_add_f16_e32 v65, v65, v71
	v_fma_f16 v71, v61, 0x3b76, -v82
	v_mul_f16_e32 v82, 0xb836, v70
	v_fmamk_f16 v84, v61, 0x3722, v73
	v_fma_f16 v73, v61, 0x3722, -v73
	v_add_f16_e32 v74, v74, v106
	v_add_f16_e32 v71, v71, v77
	v_fmamk_f16 v77, v61, 0xbacd, v82
	v_fma_f16 v82, v61, 0xbacd, -v82
	v_add_f16_e32 v73, v73, v81
	v_mul_f16_e32 v81, 0x3a62, v70
	v_mul_f16_e32 v70, 0x3964, v70
	v_sub_f16_e32 v67, v67, v68
	v_add_f16_e32 v74, v82, v74
	v_add_f16_e32 v57, v57, v60
	v_fmamk_f16 v68, v61, 0xb8d2, v81
	v_fma_f16 v81, v61, 0xb8d2, -v81
	v_fmamk_f16 v82, v61, 0x39e9, v70
	v_mul_f16_e32 v60, 0xbbb2, v67
	v_fma_f16 v61, v61, 0x39e9, -v70
	v_add_f16_e32 v68, v68, v78
	v_add_f16_e32 v70, v81, v72
	;; [unrolled: 1-line block ×3, first 2 shown]
	v_fmamk_f16 v75, v57, 0xb461, v60
	v_mul_f16_e32 v78, 0x3836, v67
	v_add_f16_e32 v40, v61, v40
	v_fma_f16 v60, v57, 0xb461, -v60
	v_mul_f16_e32 v61, 0x3964, v67
	v_add_f16_e32 v66, v75, v66
	v_fmamk_f16 v75, v57, 0xbacd, v78
	v_mul_f16_e32 v81, 0xbb29, v67
	v_add_f16_e32 v51, v60, v51
	v_fmamk_f16 v60, v57, 0x39e9, v61
	v_fma_f16 v61, v57, 0x39e9, -v61
	v_fma_f16 v78, v57, 0xbacd, -v78
	v_add_f16_e32 v75, v75, v79
	v_fma_f16 v79, v57, 0x3722, -v81
	v_add_f16_e32 v76, v80, v76
	v_add_f16_e32 v61, v61, v65
	v_mul_f16_e32 v65, 0x3bf7, v67
	v_add_f16_e32 v64, v78, v64
	v_add_f16_e32 v60, v60, v69
	v_fmamk_f16 v69, v57, 0x3722, v81
	v_mul_f16_e32 v78, 0xb1e1, v67
	v_add_f16_e32 v71, v79, v71
	v_fmamk_f16 v79, v57, 0x2de8, v65
	v_mul_f16_e32 v81, 0xb5c8, v67
	v_fma_f16 v65, v57, 0x2de8, -v65
	v_mul_f16_e32 v67, 0xba62, v67
	v_sub_f16_e32 v62, v62, v63
	v_add_f16_e32 v69, v69, v76
	v_fmamk_f16 v76, v57, 0xbbdd, v78
	v_fma_f16 v78, v57, 0xbbdd, -v78
	v_add_f16_e32 v65, v65, v74
	v_fma_f16 v63, v57, 0x3b76, -v81
	v_fmamk_f16 v74, v57, 0xb8d2, v67
	v_add_f16_e32 v53, v53, v55
	v_mul_f16_e32 v55, 0xba62, v62
	v_add_f16_e32 v73, v78, v73
	v_fmamk_f16 v78, v57, 0x3b76, v81
	v_add_f16_e32 v63, v63, v70
	v_fma_f16 v57, v57, 0xb8d2, -v67
	v_add_f16_e32 v67, v74, v72
	v_mul_f16_e32 v70, 0x3bb2, v62
	v_fmamk_f16 v72, v53, 0xb8d2, v55
	v_fma_f16 v55, v53, 0xb8d2, -v55
	v_add_f16_e32 v40, v57, v40
	v_mul_f16_e32 v57, 0xb5c8, v62
	v_fmamk_f16 v74, v53, 0xb461, v70
	v_add_f16_e32 v66, v72, v66
	v_add_f16_e32 v51, v55, v51
	v_fma_f16 v55, v53, 0xb461, -v70
	v_fmamk_f16 v70, v53, 0x3b76, v57
	v_add_f16_e32 v72, v74, v75
	v_mul_f16_e32 v74, 0xb836, v62
	v_fma_f16 v57, v53, 0x3b76, -v57
	v_add_f16_e32 v55, v55, v64
	v_mul_f16_e32 v64, 0x3bf7, v62
	v_add_f16_e32 v60, v70, v60
	v_fmamk_f16 v70, v53, 0xbacd, v74
	v_add_f16_e32 v57, v57, v61
	v_fma_f16 v61, v53, 0xbacd, -v74
	v_mul_f16_e32 v74, 0xb964, v62
	v_fmamk_f16 v75, v53, 0x2de8, v64
	v_fma_f16 v64, v53, 0x2de8, -v64
	v_add_f16_e32 v69, v70, v69
	v_sub_f16_e32 v58, v58, v59
	v_fmamk_f16 v70, v53, 0x39e9, v74
	v_fma_f16 v74, v53, 0x39e9, -v74
	v_add_f16_e32 v64, v64, v73
	v_mul_f16_e32 v73, 0xb1e1, v62
	v_mul_f16_e32 v62, 0x3b29, v62
	v_add_f16_e32 v68, v78, v68
	v_add_f16_e32 v65, v74, v65
	;; [unrolled: 1-line block ×3, first 2 shown]
	v_fmamk_f16 v59, v53, 0xbbdd, v73
	v_fma_f16 v73, v53, 0xbbdd, -v73
	v_fmamk_f16 v74, v53, 0x3722, v62
	v_mul_f16_e32 v52, 0xb836, v58
	v_fma_f16 v53, v53, 0x3722, -v62
	v_add_f16_e32 v83, v105, v83
	v_add_f16_e32 v59, v59, v68
	;; [unrolled: 1-line block ×4, first 2 shown]
	v_fmamk_f16 v67, v50, 0xbacd, v52
	v_mul_f16_e32 v68, 0x3b29, v58
	v_add_f16_e32 v40, v53, v40
	v_fma_f16 v52, v50, 0xbacd, -v52
	v_mul_f16_e32 v53, 0xbbf7, v58
	v_add_f16_e32 v77, v77, v83
	v_add_f16_e32 v66, v67, v66
	v_fmamk_f16 v67, v50, 0x3722, v68
	v_fma_f16 v68, v50, 0x3722, -v68
	v_add_f16_e32 v51, v52, v51
	v_fmamk_f16 v52, v50, 0x2de8, v53
	v_mul_f16_e32 v73, 0x3a62, v58
	v_fma_f16 v53, v50, 0x2de8, -v53
	v_add_f16_e32 v108, v113, v108
	v_add_f16_e32 v77, v79, v77
	;; [unrolled: 1-line block ×6, first 2 shown]
	v_fmamk_f16 v60, v50, 0xb8d2, v73
	v_fma_f16 v68, v50, 0xb8d2, -v73
	v_mul_f16_e32 v72, 0xb5c8, v58
	v_add_f16_e32 v53, v53, v57
	v_mul_f16_e32 v57, 0xb1e1, v58
	v_mul_f16_e32 v73, 0x3964, v58
	v_sub_f16_e32 v54, v54, v56
	v_add_f16_e32 v104, v104, v108
	v_add_f16_e32 v70, v70, v77
	;; [unrolled: 1-line block ×4, first 2 shown]
	v_fmamk_f16 v68, v50, 0x3b76, v72
	v_fma_f16 v69, v50, 0x3b76, -v72
	v_fmamk_f16 v72, v50, 0xbbdd, v57
	v_fma_f16 v57, v50, 0xbbdd, -v57
	v_mul_f16_e32 v56, 0xbbb2, v58
	v_fma_f16 v58, v50, 0x39e9, -v73
	v_add_f16_e32 v47, v47, v48
	v_mul_f16_e32 v48, 0xb1e1, v54
	v_add_f16_e32 v80, v84, v104
	v_add_f16_e32 v64, v69, v64
	;; [unrolled: 1-line block ×3, first 2 shown]
	v_fmamk_f16 v70, v50, 0x39e9, v73
	v_add_f16_e32 v57, v57, v65
	v_fmamk_f16 v65, v50, 0xb461, v56
	v_add_f16_e32 v58, v58, v62
	v_fma_f16 v50, v50, 0xb461, -v56
	v_mul_f16_e32 v56, 0x35c8, v54
	v_fmamk_f16 v62, v47, 0xbbdd, v48
	v_fma_f16 v48, v47, 0xbbdd, -v48
	v_add_f16_e32 v76, v76, v80
	v_add_f16_e32 v40, v50, v40
	v_fmamk_f16 v50, v47, 0x3b76, v56
	v_add_f16_e32 v104, v62, v66
	v_mul_f16_e32 v62, 0xb836, v54
	v_add_f16_e32 v105, v48, v51
	v_fma_f16 v48, v47, 0x3b76, -v56
	v_add_f16_e32 v71, v75, v76
	v_add_f16_e32 v106, v50, v67
	v_fmamk_f16 v51, v47, 0xbacd, v62
	v_mul_f16_e32 v50, 0x3964, v54
	v_add_f16_e32 v108, v48, v55
	v_mul_f16_e32 v48, 0xba62, v54
	v_add_f16_e32 v68, v68, v71
	v_add_f16_e32 v109, v51, v52
	v_mul_f16_e32 v52, 0x3b29, v54
	v_fmamk_f16 v55, v47, 0x39e9, v50
	v_fmamk_f16 v51, v47, 0xb8d2, v48
	v_fma_f16 v48, v47, 0xb8d2, -v48
	v_fma_f16 v50, v47, 0x39e9, -v50
	;; [unrolled: 1-line block ×3, first 2 shown]
	v_add_f16_e32 v63, v65, v63
	v_add_f16_e32 v113, v51, v68
	v_add_f16_e32 v114, v48, v64
	v_fmamk_f16 v48, v47, 0x3722, v52
	v_mul_f16_e32 v51, 0x3bf7, v54
	v_add_f16_e32 v112, v50, v61
	v_mul_f16_e32 v50, 0xbbb2, v54
	v_add_f16_e32 v110, v56, v53
	v_add_f16_e32 v115, v48, v69
	v_fmamk_f16 v48, v47, 0x2de8, v51
	v_fma_f16 v52, v47, 0x3722, -v52
	v_fmamk_f16 v53, v47, 0xb461, v50
	v_fma_f16 v50, v47, 0xb461, -v50
	v_fma_f16 v47, v47, 0x2de8, -v51
	v_add_f16_e32 v119, v48, v63
	v_lshlrev_b32_e32 v48, 1, v14
	v_lshlrev_b32_e32 v51, 1, v16
	v_add_f16_e32 v118, v50, v58
	v_lshlrev_b32_e32 v50, 1, v15
	v_add_f16_e32 v59, v70, v59
	v_add3_u32 v82, 0, v48, v0
	v_add3_u32 v84, 0, v51, v0
	v_add_f16_e32 v111, v55, v60
	v_add3_u32 v83, 0, v50, v0
	v_add_f16_e32 v116, v52, v57
	v_add_f16_e32 v117, v53, v59
	;; [unrolled: 1-line block ×3, first 2 shown]
	s_waitcnt lgkmcnt(0)
	s_barrier
	buffer_gl0_inv
	ds_read_u16 v56, v82
	ds_read_u16 v62, v83
	;; [unrolled: 1-line block ×3, first 2 shown]
	ds_read_u16 v53, v30 offset:272
	ds_read_u16 v58, v30 offset:306
	ds_read_u16 v64, v30 offset:340
	ds_read_u16 v69, v30 offset:374
	ds_read_u16 v40, v31
	ds_read_u16 v68, v30 offset:170
	ds_read_u16 v47, v30 offset:238
	;; [unrolled: 1-line block ×25, first 2 shown]
	ds_read_u16 v52, v27
	ds_read_u16 v80, v30 offset:1156
	s_waitcnt lgkmcnt(0)
	s_barrier
	buffer_gl0_inv
	ds_write_b16 v96, v107
	ds_write_b16 v96, v88 offset:14
	ds_write_b16 v96, v90 offset:28
	;; [unrolled: 1-line block ×16, first 2 shown]
	ds_write_b16 v97, v101
	ds_write_b16 v97, v104 offset:14
	ds_write_b16 v97, v106 offset:28
	;; [unrolled: 1-line block ×16, first 2 shown]
	s_and_saveexec_b32 s1, s0
	s_cbranch_execz .LBB0_20
; %bb.19:
	v_add_f16_e32 v85, v1, v43
	v_sub_f16_e32 v46, v46, v49
	v_add_f16_e32 v49, v37, v39
	v_add_f16_e32 v43, v43, v41
	v_sub_f16_e32 v44, v44, v45
	v_add_f16_e32 v37, v85, v37
	v_mul_f16_e32 v45, 0xb5c8, v46
	v_mul_f16_e32 v85, 0xb964, v46
	v_mul_f16_e32 v86, 0xbb29, v46
	v_mul_f16_e32 v87, 0xbbf7, v46
	v_add_f16_e32 v37, v37, v33
	v_mul_f16_e32 v88, 0xbbb2, v46
	v_mul_f16_e32 v89, 0xba62, v46
	;; [unrolled: 1-line block ×4, first 2 shown]
	v_add_f16_e32 v37, v37, v24
	v_mul_f16_e32 v91, 0xb964, v44
	v_mul_f16_e32 v92, 0xbbf7, v44
	v_fmamk_f16 v96, v43, 0x3b76, v45
	v_fma_f16 v45, v43, 0x3b76, -v45
	v_add_f16_e32 v37, v37, v13
	v_fmamk_f16 v97, v43, 0x39e9, v85
	v_fma_f16 v85, v43, 0x39e9, -v85
	v_mul_f16_e32 v94, 0xb1e1, v44
	v_mul_f16_e32 v95, 0x3836, v44
	v_add_f16_e32 v37, v37, v9
	v_fmamk_f16 v98, v43, 0x3722, v86
	v_fma_f16 v86, v43, 0x3722, -v86
	v_fmamk_f16 v99, v43, 0x2de8, v87
	v_fma_f16 v87, v43, 0x2de8, -v87
	v_add_f16_e32 v37, v37, v5
	v_fmamk_f16 v100, v43, 0xb461, v88
	v_fma_f16 v88, v43, 0xb461, -v88
	v_fmamk_f16 v101, v43, 0xb8d2, v89
	v_fma_f16 v89, v43, 0xb8d2, -v89
	;; [unrolled: 5-line block ×4, first 2 shown]
	v_add_f16_e32 v37, v37, v6
	v_add_f16_e32 v96, v1, v96
	v_add_f16_e32 v45, v1, v45
	v_add_f16_e32 v85, v1, v85
	v_add_f16_e32 v97, v1, v97
	v_add_f16_e32 v37, v37, v10
	v_add_f16_e32 v98, v1, v98
	v_add_f16_e32 v86, v1, v86
	v_add_f16_e32 v99, v1, v99
	v_add_f16_e32 v87, v1, v87
	v_add_f16_e32 v37, v37, v18
	v_add_f16_e32 v100, v1, v100
	v_add_f16_e32 v88, v1, v88
	v_add_f16_e32 v101, v1, v101
	v_add_f16_e32 v89, v1, v89
	v_add_f16_e32 v37, v37, v26
	v_add_f16_e32 v102, v1, v102
	v_add_f16_e32 v90, v1, v90
	v_add_f16_e32 v103, v1, v103
	v_add_f16_e32 v1, v1, v43
	v_add_f16_e32 v37, v37, v36
	v_add_f16_e32 v43, v46, v96
	v_add_f16_e32 v46, v92, v85
	v_mul_f16_e32 v92, 0x3bb2, v44
	v_mul_f16_e32 v93, 0xba62, v44
	v_add_f16_e32 v37, v37, v39
	v_add_f16_e32 v39, v91, v45
	v_fma_f16 v91, v49, 0xbbdd, -v94
	v_sub_f16_e32 v38, v38, v42
	v_fmamk_f16 v105, v49, 0xb8d2, v93
	v_add_f16_e32 v37, v37, v41
	v_fmamk_f16 v41, v49, 0xbbdd, v94
	v_fma_f16 v94, v49, 0xbacd, -v95
	v_add_f16_e32 v87, v91, v87
	v_fmamk_f16 v91, v49, 0xb461, v92
	v_fma_f16 v92, v49, 0xb461, -v92
	v_fma_f16 v93, v49, 0xb8d2, -v93
	v_add_f16_e32 v88, v94, v88
	v_mul_f16_e32 v94, 0x3b29, v44
	v_mul_f16_e32 v44, 0x35c8, v44
	v_add_f16_e32 v89, v92, v89
	v_add_f16_e32 v33, v33, v36
	v_mul_f16_e32 v36, 0xbb29, v38
	v_fmamk_f16 v42, v49, 0x3722, v94
	v_fma_f16 v92, v49, 0x3722, -v94
	v_fmamk_f16 v94, v49, 0x3b76, v44
	v_fma_f16 v44, v49, 0x3b76, -v44
	v_add_f16_e32 v86, v93, v86
	v_fmamk_f16 v93, v49, 0xbacd, v95
	v_add_f16_e32 v49, v92, v90
	v_add_f16_e32 v90, v94, v103
	v_fmamk_f16 v92, v33, 0x3722, v36
	v_mul_f16_e32 v94, 0xba62, v38
	v_add_f16_e32 v1, v44, v1
	v_fma_f16 v36, v33, 0x3722, -v36
	v_mul_f16_e32 v44, 0x31e1, v38
	v_add_f16_e32 v43, v92, v43
	v_fmamk_f16 v92, v33, 0xb8d2, v94
	v_fma_f16 v94, v33, 0xb8d2, -v94
	v_add_f16_e32 v36, v36, v39
	v_fmamk_f16 v39, v33, 0xbbdd, v44
	v_mul_f16_e32 v95, 0x3bb2, v38
	v_fma_f16 v44, v33, 0xbbdd, -v44
	v_add_f16_e32 v45, v104, v97
	v_add_f16_e32 v85, v105, v98
	;; [unrolled: 1-line block ×3, first 2 shown]
	v_fma_f16 v94, v33, 0xb461, -v95
	v_add_f16_e32 v44, v44, v86
	v_mul_f16_e32 v86, 0xb5c8, v38
	v_add_f16_e32 v41, v41, v99
	v_add_f16_e32 v45, v92, v45
	v_add_f16_e32 v39, v39, v85
	v_fmamk_f16 v85, v33, 0xb461, v95
	v_mul_f16_e32 v92, 0x3964, v38
	v_add_f16_e32 v87, v94, v87
	v_fmamk_f16 v94, v33, 0x3b76, v86
	v_mul_f16_e32 v95, 0xbbf7, v38
	v_fma_f16 v86, v33, 0x3b76, -v86
	v_mul_f16_e32 v38, 0xb836, v38
	v_sub_f16_e32 v34, v34, v35
	v_add_f16_e32 v41, v85, v41
	v_fmamk_f16 v85, v33, 0x39e9, v92
	v_fma_f16 v92, v33, 0x39e9, -v92
	v_add_f16_e32 v86, v86, v89
	v_fma_f16 v35, v33, 0x2de8, -v95
	v_fmamk_f16 v89, v33, 0xbacd, v38
	v_add_f16_e32 v24, v24, v26
	v_mul_f16_e32 v26, 0xbbf7, v34
	v_add_f16_e32 v88, v92, v88
	v_fmamk_f16 v92, v33, 0x2de8, v95
	v_add_f16_e32 v35, v35, v49
	v_fma_f16 v33, v33, 0xbacd, -v38
	v_add_f16_e32 v38, v89, v90
	v_mul_f16_e32 v49, 0xb1e1, v34
	v_fmamk_f16 v89, v24, 0x2de8, v26
	v_fma_f16 v26, v24, 0x2de8, -v26
	v_add_f16_e32 v1, v33, v1
	v_mul_f16_e32 v33, 0x3bb2, v34
	v_fmamk_f16 v90, v24, 0xbbdd, v49
	v_add_f16_e32 v43, v89, v43
	v_add_f16_e32 v26, v26, v36
	v_fma_f16 v36, v24, 0xbbdd, -v49
	v_fmamk_f16 v49, v24, 0xb461, v33
	v_mul_f16_e32 v89, 0x35c8, v34
	v_fma_f16 v33, v24, 0xb461, -v33
	v_add_f16_e32 v45, v90, v45
	v_add_f16_e32 v36, v36, v46
	v_mul_f16_e32 v46, 0xbb29, v34
	v_add_f16_e32 v39, v49, v39
	v_fmamk_f16 v49, v24, 0x3b76, v89
	v_add_f16_e32 v33, v33, v44
	v_fma_f16 v44, v24, 0x3b76, -v89
	v_mul_f16_e32 v89, 0xb836, v34
	v_fmamk_f16 v90, v24, 0x3722, v46
	v_fma_f16 v46, v24, 0x3722, -v46
	v_add_f16_e32 v42, v42, v102
	v_add_f16_e32 v44, v44, v87
	v_fma_f16 v87, v24, 0xbacd, -v89
	v_sub_f16_e32 v25, v25, v32
	v_add_f16_e32 v46, v46, v88
	v_mul_f16_e32 v88, 0x3a62, v34
	v_mul_f16_e32 v34, 0x3964, v34
	v_add_f16_e32 v42, v92, v42
	v_add_f16_e32 v41, v49, v41
	v_fmamk_f16 v49, v24, 0xbacd, v89
	v_add_f16_e32 v86, v87, v86
	v_fmamk_f16 v32, v24, 0xb8d2, v88
	v_fma_f16 v87, v24, 0xb8d2, -v88
	v_fmamk_f16 v88, v24, 0x39e9, v34
	v_add_f16_e32 v13, v13, v18
	v_mul_f16_e32 v18, 0xbbb2, v25
	v_fma_f16 v24, v24, 0x39e9, -v34
	v_add_f16_e32 v32, v32, v42
	v_add_f16_e32 v34, v87, v35
	;; [unrolled: 1-line block ×3, first 2 shown]
	v_fmamk_f16 v38, v13, 0xb461, v18
	v_mul_f16_e32 v42, 0x3836, v25
	v_add_f16_e32 v1, v24, v1
	v_fma_f16 v18, v13, 0xb461, -v18
	v_mul_f16_e32 v24, 0x3964, v25
	v_add_f16_e32 v38, v38, v43
	v_fmamk_f16 v43, v13, 0xbacd, v42
	v_fma_f16 v42, v13, 0xbacd, -v42
	v_add_f16_e32 v18, v18, v26
	v_fmamk_f16 v26, v13, 0x39e9, v24
	v_mul_f16_e32 v87, 0xbb29, v25
	v_add_f16_e32 v43, v43, v45
	v_add_f16_e32 v36, v42, v36
	v_mul_f16_e32 v42, 0xb1e1, v25
	v_add_f16_e32 v26, v26, v39
	v_fmamk_f16 v39, v13, 0x3722, v87
	v_fma_f16 v24, v13, 0x39e9, -v24
	v_fma_f16 v45, v13, 0x3722, -v87
	v_mul_f16_e32 v87, 0xb5c8, v25
	v_sub_f16_e32 v17, v17, v19
	v_add_f16_e32 v39, v39, v41
	v_fmamk_f16 v41, v13, 0xbbdd, v42
	v_fma_f16 v42, v13, 0xbbdd, -v42
	v_add_f16_e32 v24, v24, v33
	v_mul_f16_e32 v33, 0x3bf7, v25
	v_mul_f16_e32 v25, 0xba62, v25
	v_add_f16_e32 v44, v45, v44
	v_add_f16_e32 v42, v42, v46
	v_fmamk_f16 v46, v13, 0x3b76, v87
	v_fmamk_f16 v45, v13, 0x2de8, v33
	v_fma_f16 v33, v13, 0x2de8, -v33
	v_fma_f16 v19, v13, 0x3b76, -v87
	v_add_f16_e32 v9, v9, v10
	v_add_f16_e32 v32, v46, v32
	v_fmamk_f16 v46, v13, 0xb8d2, v25
	v_mul_f16_e32 v10, 0xba62, v17
	v_fma_f16 v13, v13, 0xb8d2, -v25
	v_add_f16_e32 v19, v19, v34
	v_mul_f16_e32 v34, 0x3bb2, v17
	v_add_f16_e32 v25, v46, v35
	v_fmamk_f16 v35, v9, 0xb8d2, v10
	v_fma_f16 v10, v9, 0xb8d2, -v10
	v_add_f16_e32 v1, v13, v1
	v_mul_f16_e32 v13, 0xb5c8, v17
	v_fmamk_f16 v46, v9, 0xb461, v34
	v_add_f16_e32 v35, v35, v38
	v_add_f16_e32 v10, v10, v18
	v_fma_f16 v18, v9, 0xb461, -v34
	v_fmamk_f16 v34, v9, 0x3b76, v13
	v_add_f16_e32 v38, v46, v43
	v_mul_f16_e32 v43, 0xb836, v17
	v_fma_f16 v13, v9, 0x3b76, -v13
	v_add_f16_e32 v18, v18, v36
	v_add_f16_e32 v26, v34, v26
	v_mul_f16_e32 v34, 0x3bf7, v17
	v_fmamk_f16 v36, v9, 0xbacd, v43
	v_add_f16_e32 v13, v13, v24
	v_fma_f16 v24, v9, 0xbacd, -v43
	v_mul_f16_e32 v43, 0xb964, v17
	v_fmamk_f16 v46, v9, 0x2de8, v34
	v_fma_f16 v34, v9, 0x2de8, -v34
	v_add_f16_e32 v33, v33, v86
	v_add_f16_e32 v36, v36, v39
	v_fmamk_f16 v39, v9, 0x39e9, v43
	v_fma_f16 v43, v9, 0x39e9, -v43
	v_add_f16_e32 v34, v34, v42
	v_mul_f16_e32 v42, 0xb1e1, v17
	v_mul_f16_e32 v17, 0x3b29, v17
	v_sub_f16_e32 v11, v11, v12
	v_add_f16_e32 v33, v43, v33
	v_add_f16_e32 v5, v5, v6
	v_fmamk_f16 v12, v9, 0xbbdd, v42
	v_fma_f16 v42, v9, 0xbbdd, -v42
	v_fmamk_f16 v43, v9, 0x3722, v17
	v_mul_f16_e32 v6, 0xb836, v11
	v_fma_f16 v9, v9, 0x3722, -v17
	v_add_f16_e32 v91, v91, v101
	v_add_f16_e32 v12, v12, v32
	;; [unrolled: 1-line block ×4, first 2 shown]
	v_fmamk_f16 v25, v5, 0xbacd, v6
	v_mul_f16_e32 v32, 0x3b29, v11
	v_add_f16_e32 v1, v9, v1
	v_fma_f16 v6, v5, 0xbacd, -v6
	v_mul_f16_e32 v9, 0xbbf7, v11
	v_add_f16_e32 v91, v94, v91
	v_add_f16_e32 v25, v25, v35
	v_fmamk_f16 v35, v5, 0x3722, v32
	v_add_f16_e32 v6, v6, v10
	v_fmamk_f16 v10, v5, 0x2de8, v9
	v_mul_f16_e32 v42, 0x3a62, v11
	v_fma_f16 v9, v5, 0x2de8, -v9
	v_add_f16_e32 v49, v49, v91
	v_add_f16_e32 v24, v24, v44
	v_fma_f16 v32, v5, 0x3722, -v32
	v_add_f16_e32 v35, v35, v38
	v_fma_f16 v38, v5, 0xb8d2, -v42
	v_add_f16_e32 v9, v9, v13
	v_mul_f16_e32 v13, 0xb1e1, v11
	v_add_f16_e32 v93, v93, v100
	v_add_f16_e32 v45, v45, v49
	;; [unrolled: 1-line block ×4, first 2 shown]
	v_fmamk_f16 v26, v5, 0xb8d2, v42
	v_mul_f16_e32 v32, 0xb5c8, v11
	v_add_f16_e32 v24, v38, v24
	v_fmamk_f16 v38, v5, 0xbbdd, v13
	v_mul_f16_e32 v42, 0x3964, v11
	v_fma_f16 v13, v5, 0xbbdd, -v13
	v_mul_f16_e32 v11, 0xbbb2, v11
	v_sub_f16_e32 v7, v7, v8
	v_add_f16_e32 v85, v85, v93
	v_add_f16_e32 v39, v39, v45
	;; [unrolled: 1-line block ×3, first 2 shown]
	v_fmamk_f16 v36, v5, 0x3b76, v32
	v_fma_f16 v32, v5, 0x3b76, -v32
	v_add_f16_e32 v13, v13, v33
	v_fma_f16 v8, v5, 0x39e9, -v42
	v_fmamk_f16 v33, v5, 0xb461, v11
	v_add_f16_e32 v3, v3, v4
	v_mul_f16_e32 v4, 0xb1e1, v7
	v_add_f16_e32 v85, v90, v85
	v_add_f16_e32 v32, v32, v34
	;; [unrolled: 1-line block ×3, first 2 shown]
	v_fmamk_f16 v38, v5, 0x39e9, v42
	v_add_f16_e32 v8, v8, v17
	v_fma_f16 v5, v5, 0xb461, -v11
	v_mul_f16_e32 v11, 0x35c8, v7
	v_add_f16_e32 v17, v33, v19
	v_fmamk_f16 v19, v3, 0xbbdd, v4
	v_fma_f16 v4, v3, 0xbbdd, -v4
	v_add_f16_e32 v41, v41, v85
	v_mul_f16_e32 v33, 0xb836, v7
	v_add_f16_e32 v1, v5, v1
	v_fmamk_f16 v5, v3, 0x3b76, v11
	v_add_f16_e32 v4, v4, v6
	v_fma_f16 v6, v3, 0x3b76, -v11
	v_add_f16_e32 v41, v46, v41
	v_add_f16_e32 v19, v19, v25
	v_fmamk_f16 v11, v3, 0xbacd, v33
	v_fma_f16 v25, v3, 0xbacd, -v33
	v_mul_f16_e32 v33, 0x3964, v7
	v_add_f16_e32 v6, v6, v18
	v_mul_f16_e32 v18, 0xba62, v7
	v_add_f16_e32 v36, v36, v41
	v_add_f16_e32 v10, v11, v10
	;; [unrolled: 1-line block ×3, first 2 shown]
	v_fmamk_f16 v11, v3, 0x39e9, v33
	v_fma_f16 v25, v3, 0x39e9, -v33
	v_fmamk_f16 v33, v3, 0xb8d2, v18
	v_add_f16_e32 v5, v5, v35
	v_mul_f16_e32 v35, 0x3b29, v7
	v_fma_f16 v18, v3, 0xb8d2, -v18
	v_add_f16_e32 v24, v25, v24
	v_add_f16_e32 v25, v33, v36
	v_mov_b32_e32 v33, 1
	v_add_f16_e32 v11, v11, v26
	v_fmamk_f16 v26, v3, 0x3722, v35
	v_add_f16_e32 v18, v18, v32
	v_fma_f16 v32, v3, 0x3722, -v35
	v_mul_f16_e32 v35, 0xbbb2, v7
	v_mul_f16_e32 v7, 0x3bf7, v7
	v_lshlrev_b32_sdwa v2, v33, v2 dst_sel:DWORD dst_unused:UNUSED_PAD src0_sel:DWORD src1_sel:BYTE_0
	v_add_f16_e32 v12, v38, v12
	v_add_f16_e32 v26, v26, v34
	;; [unrolled: 1-line block ×3, first 2 shown]
	v_fmamk_f16 v32, v3, 0xb461, v35
	v_fma_f16 v33, v3, 0xb461, -v35
	v_fmamk_f16 v34, v3, 0x2de8, v7
	v_fma_f16 v3, v3, 0x2de8, -v7
	v_add3_u32 v0, 0, v2, v0
	v_add_f16_e32 v2, v32, v12
	v_add_f16_e32 v7, v33, v8
	;; [unrolled: 1-line block ×4, first 2 shown]
	ds_write_b16 v0, v37 offset:952
	ds_write_b16 v0, v19 offset:966
	;; [unrolled: 1-line block ×17, first 2 shown]
.LBB0_20:
	s_or_b32 exec_lo, exec_lo, s1
	s_waitcnt lgkmcnt(0)
	s_barrier
	buffer_gl0_inv
	s_and_saveexec_b32 s0, vcc_lo
	s_cbranch_execz .LBB0_22
; %bb.21:
	v_lshlrev_b32_e32 v26, 2, v28
	v_mov_b32_e32 v25, 0
	v_mul_lo_u32 v32, s5, v22
	v_mul_lo_u32 v33, s4, v23
	v_mad_u64_u32 v[22:23], null, s4, v22, 0
	v_add_nc_u32_e32 v24, 0x198, v26
	v_lshlrev_b64 v[0:1], 2, v[24:25]
	v_add_nc_u32_e32 v24, 0x154, v26
	v_add3_u32 v23, v23, v33, v32
	v_add_co_u32 v0, vcc_lo, s12, v0
	v_add_co_ci_u32_e32 v1, vcc_lo, s13, v1, vcc_lo
	v_lshlrev_b64 v[22:23], 2, v[22:23]
	global_load_dwordx4 v[4:7], v[0:1], off offset:448
	v_lshlrev_b64 v[0:1], 2, v[24:25]
	v_lshlrev_b32_e32 v24, 2, v16
	v_lshlrev_b64 v[8:9], 2, v[24:25]
	v_add_co_u32 v0, vcc_lo, s12, v0
	v_add_co_ci_u32_e32 v1, vcc_lo, s13, v1, vcc_lo
	v_lshlrev_b32_e32 v24, 2, v15
	v_add_co_u32 v8, vcc_lo, s12, v8
	global_load_dwordx4 v[0:3], v[0:1], off offset:448
	v_add_co_ci_u32_e32 v9, vcc_lo, s13, v9, vcc_lo
	v_lshlrev_b64 v[12:13], 2, v[24:25]
	v_lshlrev_b32_e32 v24, 2, v14
	global_load_dwordx4 v[8:11], v[8:9], off offset:448
	v_add_co_u32 v12, vcc_lo, s12, v12
	v_add_co_ci_u32_e32 v13, vcc_lo, s13, v13, vcc_lo
	global_load_dwordx4 v[16:19], v[12:13], off offset:448
	v_lshlrev_b64 v[12:13], 2, v[24:25]
	v_lshlrev_b32_e32 v24, 2, v29
	v_add_co_u32 v12, vcc_lo, s12, v12
	v_add_co_ci_u32_e32 v13, vcc_lo, s13, v13, vcc_lo
	global_load_dwordx4 v[12:15], v[12:13], off offset:448
	ds_read_u16 v34, v30 offset:680
	ds_read_u16 v35, v30 offset:204
	;; [unrolled: 1-line block ×10, first 2 shown]
	ds_read_u16 v43, v84
	ds_read_u16 v44, v83
	;; [unrolled: 1-line block ×3, first 2 shown]
	ds_read_u16 v45, v30 offset:1156
	ds_read_u16 v84, v27
	v_mov_b32_e32 v27, v25
	v_lshlrev_b64 v[24:25], 2, v[24:25]
	ds_read_u16 v46, v30 offset:374
	ds_read_u16 v49, v30 offset:340
	;; [unrolled: 1-line block ×13, first 2 shown]
	ds_read_u16 v82, v31
	v_lshlrev_b64 v[26:27], 2, v[26:27]
	v_add_co_u32 v26, vcc_lo, s12, v26
	v_add_co_ci_u32_e32 v27, vcc_lo, s13, v27, vcc_lo
	v_add_co_u32 v24, vcc_lo, s12, v24
	v_add_co_ci_u32_e32 v25, vcc_lo, s13, v25, vcc_lo
	s_clause 0x1
	global_load_dwordx4 v[86:89], v[26:27], off offset:448
	global_load_dwordx4 v[90:93], v[24:25], off offset:448
	ds_read_u16 v32, v30 offset:1122
	v_add_co_u32 v22, vcc_lo, s10, v22
	v_add_co_ci_u32_e32 v23, vcc_lo, s11, v23, vcc_lo
	ds_read_u16 v134, v30 offset:986
	s_waitcnt vmcnt(6)
	v_mul_f16_sdwa v26, v79, v6 dst_sel:DWORD dst_unused:UNUSED_PAD src0_sel:DWORD src1_sel:WORD_1
	s_waitcnt lgkmcnt(10)
	v_mul_f16_sdwa v33, v29, v6 dst_sel:DWORD dst_unused:UNUSED_PAD src0_sel:DWORD src1_sel:WORD_1
	v_mul_f16_sdwa v25, v81, v5 dst_sel:DWORD dst_unused:UNUSED_PAD src0_sel:DWORD src1_sel:WORD_1
	;; [unrolled: 1-line block ×4, first 2 shown]
	v_fmac_f16_e32 v26, v29, v6
	v_fma_f16 v29, v79, v6, -v33
	ds_read_u16 v79, v30 offset:1088
	v_fmac_f16_e32 v25, v34, v5
	v_mul_f16_sdwa v24, v78, v4 dst_sel:DWORD dst_unused:UNUSED_PAD src0_sel:DWORD src1_sel:WORD_1
	v_mul_f16_sdwa v105, v41, v4 dst_sel:DWORD dst_unused:UNUSED_PAD src0_sel:DWORD src1_sel:WORD_1
	;; [unrolled: 1-line block ×3, first 2 shown]
	v_fmac_f16_e32 v27, v45, v7
	v_fma_f16 v5, v81, v5, -v31
	v_fmac_f16_e32 v24, v41, v4
	s_waitcnt vmcnt(5)
	v_mul_f16_sdwa v34, v77, v2 dst_sel:DWORD dst_unused:UNUSED_PAD src0_sel:DWORD src1_sel:WORD_1
	s_waitcnt lgkmcnt(10)
	v_mul_f16_sdwa v45, v98, v2 dst_sel:DWORD dst_unused:UNUSED_PAD src0_sel:DWORD src1_sel:WORD_1
	v_fma_f16 v4, v78, v4, -v105
	v_fma_f16 v31, v80, v7, -v106
	v_mul_f16_sdwa v6, v74, v0 dst_sel:DWORD dst_unused:UNUSED_PAD src0_sel:DWORD src1_sel:WORD_1
	v_fmac_f16_e32 v34, v98, v2
	ds_read_u16 v98, v30 offset:1054
	v_mul_f16_sdwa v33, v75, v1 dst_sel:DWORD dst_unused:UNUSED_PAD src0_sel:DWORD src1_sel:WORD_1
	v_mul_f16_sdwa v41, v76, v3 dst_sel:DWORD dst_unused:UNUSED_PAD src0_sel:DWORD src1_sel:WORD_1
	;; [unrolled: 1-line block ×4, first 2 shown]
	s_waitcnt lgkmcnt(3)
	v_mul_f16_sdwa v80, v32, v3 dst_sel:DWORD dst_unused:UNUSED_PAD src0_sel:DWORD src1_sel:WORD_1
	v_sub_f16_e32 v81, v24, v25
	v_sub_f16_e32 v107, v4, v31
	v_add_f16_e32 v108, v25, v26
	v_sub_f16_e32 v109, v4, v5
	v_add_f16_e32 v111, v5, v29
	v_sub_f16_e32 v112, v24, v27
	v_sub_f16_e32 v114, v25, v24
	;; [unrolled: 1-line block ×3, first 2 shown]
	v_add_f16_e32 v116, v24, v27
	v_sub_f16_e32 v117, v5, v4
	v_add_f16_e32 v119, v4, v31
	v_add_f16_e32 v24, v24, v35
	;; [unrolled: 1-line block ×3, first 2 shown]
	v_fmac_f16_e32 v6, v42, v0
	v_fmac_f16_e32 v33, v36, v1
	;; [unrolled: 1-line block ×3, first 2 shown]
	v_fma_f16 v32, v75, v1, -v7
	v_fma_f16 v36, v77, v2, -v45
	;; [unrolled: 1-line block ×4, first 2 shown]
	s_waitcnt vmcnt(4)
	v_mul_f16_sdwa v45, v69, v8 dst_sel:DWORD dst_unused:UNUSED_PAD src0_sel:DWORD src1_sel:WORD_1
	v_mul_f16_sdwa v74, v70, v9 dst_sel:DWORD dst_unused:UNUSED_PAD src0_sel:DWORD src1_sel:WORD_1
	;; [unrolled: 1-line block ×6, first 2 shown]
	s_waitcnt lgkmcnt(1)
	v_mul_f16_sdwa v120, v79, v11 dst_sel:DWORD dst_unused:UNUSED_PAD src0_sel:DWORD src1_sel:WORD_1
	v_sub_f16_e32 v105, v27, v26
	v_sub_f16_e32 v110, v31, v29
	;; [unrolled: 1-line block ×4, first 2 shown]
	v_mul_f16_sdwa v78, v99, v10 dst_sel:DWORD dst_unused:UNUSED_PAD src0_sel:DWORD src1_sel:WORD_1
	v_fma_f16 v2, -0.5, v108, v35
	v_fma_f16 v3, -0.5, v111, v73
	v_add_f16_e32 v108, v114, v115
	v_fma_f16 v0, -0.5, v116, v35
	v_fma_f16 v1, -0.5, v119, v73
	v_add_f16_e32 v24, v25, v24
	v_add_f16_e32 v25, v4, v5
	v_sub_f16_e32 v35, v6, v33
	v_sub_f16_e32 v73, v41, v34
	v_add_f16_e32 v114, v33, v34
	v_add_f16_e32 v123, v6, v41
	v_sub_f16_e32 v124, v32, v7
	v_sub_f16_e32 v125, v36, v42
	v_add_f16_e32 v126, v7, v42
	v_add_f16_e32 v127, v6, v104
	;; [unrolled: 1-line block ×3, first 2 shown]
	v_fmac_f16_e32 v45, v46, v8
	v_fmac_f16_e32 v74, v37, v9
	;; [unrolled: 1-line block ×3, first 2 shown]
	ds_read_u16 v79, v30 offset:1020
	v_fmac_f16_e32 v76, v99, v10
	v_fma_f16 v37, v70, v9, -v77
	v_fma_f16 v8, v69, v8, -v80
	;; [unrolled: 1-line block ×3, first 2 shown]
	s_waitcnt vmcnt(3)
	v_mul_f16_sdwa v71, v65, v17 dst_sel:DWORD dst_unused:UNUSED_PAD src0_sel:DWORD src1_sel:WORD_1
	v_mul_f16_sdwa v77, v67, v18 dst_sel:DWORD dst_unused:UNUSED_PAD src0_sel:DWORD src1_sel:WORD_1
	v_sub_f16_e32 v106, v5, v29
	v_add_f16_e32 v81, v81, v105
	v_add_f16_e32 v105, v109, v110
	;; [unrolled: 1-line block ×3, first 2 shown]
	v_sub_f16_e32 v110, v32, v36
	v_sub_f16_e32 v115, v7, v32
	;; [unrolled: 1-line block ×3, first 2 shown]
	v_add_f16_e32 v117, v32, v36
	v_sub_f16_e32 v119, v33, v34
	v_sub_f16_e32 v121, v33, v6
	;; [unrolled: 1-line block ×3, first 2 shown]
	v_fma_f16 v46, v72, v10, -v78
	v_mul_f16_sdwa v70, v64, v16 dst_sel:DWORD dst_unused:UNUSED_PAD src0_sel:DWORD src1_sel:WORD_1
	v_mul_f16_sdwa v72, v66, v19 dst_sel:DWORD dst_unused:UNUSED_PAD src0_sel:DWORD src1_sel:WORD_1
	;; [unrolled: 1-line block ×5, first 2 shown]
	s_waitcnt lgkmcnt(1)
	v_mul_f16_sdwa v80, v98, v19 dst_sel:DWORD dst_unused:UNUSED_PAD src0_sel:DWORD src1_sel:WORD_1
	v_add_f16_e32 v99, v26, v24
	v_add_f16_e32 v29, v25, v29
	;; [unrolled: 1-line block ×3, first 2 shown]
	v_fma_f16 v24, -0.5, v114, v104
	v_fma_f16 v10, -0.5, v123, v104
	v_add_f16_e32 v104, v124, v125
	v_fma_f16 v25, -0.5, v126, v68
	v_add_f16_e32 v33, v33, v127
	v_add_f16_e32 v32, v128, v32
	v_sub_f16_e32 v35, v45, v74
	v_add_f16_e32 v120, v74, v76
	v_sub_f16_e32 v124, v45, v75
	v_sub_f16_e32 v126, v74, v45
	v_add_f16_e32 v128, v45, v75
	v_add_f16_e32 v45, v45, v43
	v_add_f16_e32 v132, v63, v8
	v_fmac_f16_e32 v71, v38, v17
	v_fmac_f16_e32 v77, v100, v18
	v_sub_f16_e32 v118, v6, v41
	v_fmamk_f16 v4, v107, 0x3b9c, v2
	v_fmamk_f16 v5, v112, 0xbb9c, v3
	v_fmamk_f16 v6, v106, 0x3b9c, v0
	v_fmac_f16_e32 v0, 0xbb9c, v106
	v_fmac_f16_e32 v2, 0xbb9c, v107
	;; [unrolled: 1-line block ×3, first 2 shown]
	v_add_f16_e32 v114, v115, v116
	v_fma_f16 v26, -0.5, v117, v68
	v_add_f16_e32 v115, v121, v122
	v_sub_f16_e32 v68, v75, v76
	v_sub_f16_e32 v117, v8, v69
	;; [unrolled: 1-line block ×4, first 2 shown]
	v_add_f16_e32 v123, v37, v46
	v_sub_f16_e32 v127, v76, v75
	v_sub_f16_e32 v129, v37, v8
	;; [unrolled: 1-line block ×3, first 2 shown]
	v_add_f16_e32 v131, v8, v69
	v_fmac_f16_e32 v70, v49, v16
	v_fmac_f16_e32 v72, v98, v19
	v_fma_f16 v38, v65, v17, -v9
	v_fma_f16 v65, v67, v18, -v11
	;; [unrolled: 1-line block ×4, first 2 shown]
	s_waitcnt vmcnt(2)
	v_mul_f16_sdwa v67, v59, v13 dst_sel:DWORD dst_unused:UNUSED_PAD src0_sel:DWORD src1_sel:WORD_1
	v_add_f16_e32 v9, v31, v29
	v_add_f16_e32 v19, v34, v33
	v_fma_f16 v34, -0.5, v120, v43
	v_fma_f16 v29, -0.5, v128, v43
	v_add_f16_e32 v43, v74, v45
	v_add_f16_e32 v45, v132, v37
	;; [unrolled: 1-line block ×3, first 2 shown]
	v_sub_f16_e32 v111, v7, v42
	v_fmamk_f16 v7, v113, 0xbb9c, v1
	v_fmac_f16_e32 v1, 0x3b9c, v113
	v_sub_f16_e32 v116, v37, v46
	v_sub_f16_e32 v125, v74, v76
	v_mul_f16_sdwa v80, v61, v14 dst_sel:DWORD dst_unused:UNUSED_PAD src0_sel:DWORD src1_sel:WORD_1
	v_mul_f16_sdwa v98, v39, v13 dst_sel:DWORD dst_unused:UNUSED_PAD src0_sel:DWORD src1_sel:WORD_1
	v_fmac_f16_e32 v4, 0x38b4, v106
	v_fmac_f16_e32 v5, 0xb8b4, v113
	v_fmac_f16_e32 v6, 0xb8b4, v107
	v_add_f16_e32 v8, v27, v99
	v_fmac_f16_e32 v0, 0x38b4, v107
	v_fmac_f16_e32 v2, 0xb8b4, v106
	;; [unrolled: 1-line block ×3, first 2 shown]
	v_add_f16_e32 v27, v32, v36
	v_add_f16_e32 v68, v35, v68
	;; [unrolled: 1-line block ×3, first 2 shown]
	v_fma_f16 v35, -0.5, v123, v63
	v_add_f16_e32 v106, v126, v127
	v_add_f16_e32 v107, v129, v130
	v_fma_f16 v31, -0.5, v131, v63
	v_sub_f16_e32 v63, v70, v71
	v_sub_f16_e32 v74, v72, v77
	;; [unrolled: 1-line block ×4, first 2 shown]
	v_add_f16_e32 v123, v38, v65
	v_sub_f16_e32 v126, v70, v72
	v_sub_f16_e32 v128, v71, v70
	v_add_f16_e32 v130, v70, v72
	v_sub_f16_e32 v131, v38, v49
	v_add_f16_e32 v136, v49, v64
	v_add_f16_e32 v70, v70, v44
	;; [unrolled: 1-line block ×3, first 2 shown]
	v_fmac_f16_e32 v67, v39, v13
	v_add_f16_e32 v19, v41, v19
	v_fmamk_f16 v32, v117, 0x3b9c, v34
	v_fmac_f16_e32 v34, 0xbb9c, v117
	v_add_f16_e32 v39, v76, v43
	v_add_f16_e32 v41, v45, v46
	v_fma_f16 v46, -0.5, v120, v44
	v_mul_f16_sdwa v66, v58, v12 dst_sel:DWORD dst_unused:UNUSED_PAD src0_sel:DWORD src1_sel:WORD_1
	v_mul_f16_sdwa v100, v101, v14 dst_sel:DWORD dst_unused:UNUSED_PAD src0_sel:DWORD src1_sel:WORD_1
	;; [unrolled: 1-line block ×3, first 2 shown]
	s_waitcnt lgkmcnt(0)
	v_mul_f16_sdwa v135, v79, v15 dst_sel:DWORD dst_unused:UNUSED_PAD src0_sel:DWORD src1_sel:WORD_1
	v_fmac_f16_e32 v7, 0x38b4, v112
	v_fmac_f16_e32 v1, 0xb8b4, v112
	v_fmamk_f16 v11, v111, 0x3b9c, v24
	v_fmac_f16_e32 v24, 0xbb9c, v111
	v_sub_f16_e32 v112, v38, v65
	v_add_f16_e32 v74, v63, v74
	v_fma_f16 v63, -0.5, v123, v62
	v_fma_f16 v43, -0.5, v130, v44
	v_fma_f16 v44, -0.5, v136, v62
	v_add_f16_e32 v62, v71, v70
	v_add_f16_e32 v70, v49, v38
	v_fmac_f16_e32 v32, 0x38b4, v116
	v_fmac_f16_e32 v34, 0xb8b4, v116
	v_add_f16_e32 v38, v75, v39
	v_add_f16_e32 v39, v69, v41
	v_fmamk_f16 v41, v113, 0x3b9c, v46
	v_fmac_f16_e32 v46, 0xbb9c, v113
	v_fmac_f16_e32 v80, v101, v14
	v_mul_f16_sdwa v78, v60, v15 dst_sel:DWORD dst_unused:UNUSED_PAD src0_sel:DWORD src1_sel:WORD_1
	v_fmac_f16_e32 v66, v95, v12
	v_fmac_f16_e32 v11, 0x38b4, v110
	;; [unrolled: 1-line block ×7, first 2 shown]
	v_fma_f16 v13, v59, v13, -v98
	v_fma_f16 v68, v61, v14, -v100
	v_fma_f16 v12, v58, v12, -v133
	v_fma_f16 v69, v60, v15, -v135
	v_add_f16_e32 v14, v67, v80
	v_sub_f16_e32 v122, v64, v65
	v_sub_f16_e32 v132, v65, v64
	v_fmac_f16_e32 v11, 0x34f2, v73
	v_fmac_f16_e32 v24, 0x34f2, v73
	v_add_f16_e32 v62, v77, v62
	v_add_f16_e32 v65, v70, v65
	v_fmac_f16_e32 v41, 0x34f2, v74
	v_fmac_f16_e32 v46, 0x34f2, v74
	;; [unrolled: 1-line block ×3, first 2 shown]
	v_add_f16_e32 v15, v13, v68
	v_sub_f16_e32 v70, v12, v69
	v_fma_f16 v60, -0.5, v14, v83
	v_sub_f16_e32 v73, v12, v13
	v_sub_f16_e32 v74, v69, v68
	;; [unrolled: 1-line block ×3, first 2 shown]
	v_add_f16_e32 v62, v72, v62
	v_sub_f16_e32 v59, v66, v67
	v_sub_f16_e32 v14, v78, v80
	v_fma_f16 v61, -0.5, v15, v56
	v_sub_f16_e32 v72, v13, v68
	v_fmamk_f16 v15, v70, 0x3b9c, v60
	v_fmac_f16_e32 v60, 0xbb9c, v70
	v_add_f16_e32 v73, v73, v74
	v_add_f16_e32 v74, v66, v78
	;; [unrolled: 1-line block ×3, first 2 shown]
	v_fmac_f16_e32 v15, 0x38b4, v72
	v_add_f16_e32 v14, v64, v65
	v_fmac_f16_e32 v60, 0xb8b4, v72
	v_fma_f16 v64, -0.5, v74, v83
	v_sub_f16_e32 v127, v71, v77
	v_sub_f16_e32 v71, v66, v78
	v_fmac_f16_e32 v15, 0x34f2, v59
	v_fmac_f16_e32 v60, 0x34f2, v59
	v_sub_f16_e32 v65, v67, v66
	v_sub_f16_e32 v74, v80, v78
	v_fmamk_f16 v59, v72, 0xbb9c, v64
	v_fmac_f16_e32 v64, 0x3b9c, v72
	v_add_f16_e32 v66, v66, v83
	v_add_f16_e32 v72, v12, v69
	v_sub_f16_e32 v75, v67, v80
	v_add_f16_e32 v65, v65, v74
	v_fmac_f16_e32 v59, 0x38b4, v70
	v_fmac_f16_e32 v64, 0xb8b4, v70
	v_add_f16_e32 v67, v67, v66
	v_fma_f16 v66, -0.5, v72, v56
	v_sub_f16_e32 v70, v13, v12
	v_fmac_f16_e32 v59, 0x34f2, v65
	v_fmac_f16_e32 v64, 0x34f2, v65
	v_add_f16_e32 v67, v80, v67
	v_sub_f16_e32 v72, v68, v69
	v_fmamk_f16 v65, v75, 0x3b9c, v66
	v_fmac_f16_e32 v66, 0xbb9c, v75
	v_fmamk_f16 v58, v71, 0xbb9c, v61
	v_fmac_f16_e32 v61, 0x3b9c, v71
	v_add_f16_e32 v12, v56, v12
	v_add_f16_e32 v56, v78, v67
	;; [unrolled: 1-line block ×3, first 2 shown]
	v_fmac_f16_e32 v65, 0xb8b4, v71
	v_fmac_f16_e32 v66, 0x38b4, v71
	;; [unrolled: 1-line block ×4, first 2 shown]
	v_add_f16_e32 v12, v12, v13
	s_waitcnt vmcnt(0)
	v_mul_f16_sdwa v70, v54, v91 dst_sel:DWORD dst_unused:UNUSED_PAD src0_sel:DWORD src1_sel:WORD_1
	v_fmac_f16_e32 v65, 0x34f2, v67
	v_fmac_f16_e32 v66, 0x34f2, v67
	v_mul_f16_sdwa v67, v57, v92 dst_sel:DWORD dst_unused:UNUSED_PAD src0_sel:DWORD src1_sel:WORD_1
	v_mul_f16_sdwa v71, v96, v90 dst_sel:DWORD dst_unused:UNUSED_PAD src0_sel:DWORD src1_sel:WORD_1
	;; [unrolled: 1-line block ×3, first 2 shown]
	v_fmamk_f16 v45, v112, 0xbb9c, v43
	v_fmac_f16_e32 v43, 0x3b9c, v112
	v_fmac_f16_e32 v58, 0x34f2, v73
	v_fmac_f16_e32 v61, 0x34f2, v73
	v_mul_f16_sdwa v13, v53, v90 dst_sel:DWORD dst_unused:UNUSED_PAD src0_sel:DWORD src1_sel:WORD_1
	v_add_f16_e32 v12, v12, v68
	v_fmac_f16_e32 v70, v85, v91
	v_mul_f16_sdwa v68, v55, v93 dst_sel:DWORD dst_unused:UNUSED_PAD src0_sel:DWORD src1_sel:WORD_1
	v_fmac_f16_e32 v67, v102, v92
	v_mul_f16_sdwa v73, v85, v91 dst_sel:DWORD dst_unused:UNUSED_PAD src0_sel:DWORD src1_sel:WORD_1
	v_mul_f16_sdwa v74, v102, v92 dst_sel:DWORD dst_unused:UNUSED_PAD src0_sel:DWORD src1_sel:WORD_1
	v_fma_f16 v53, v53, v90, -v71
	v_fma_f16 v55, v55, v93, -v72
	v_fmac_f16_e32 v4, 0x34f2, v81
	v_fmac_f16_e32 v2, 0x34f2, v81
	v_add_f16_e32 v81, v128, v129
	v_fmac_f16_e32 v45, 0x38b4, v113
	v_fmac_f16_e32 v43, 0xb8b4, v113
	;; [unrolled: 1-line block ×3, first 2 shown]
	v_add_f16_e32 v71, v70, v67
	v_fma_f16 v54, v54, v91, -v73
	v_fma_f16 v57, v57, v92, -v74
	v_fmac_f16_e32 v68, v134, v93
	v_add_f16_e32 v83, v53, v55
	v_add_f16_e32 v27, v42, v27
	v_fmamk_f16 v42, v126, 0xbb9c, v63
	v_fmac_f16_e32 v63, 0x3b9c, v126
	v_fmac_f16_e32 v45, 0x34f2, v81
	;; [unrolled: 1-line block ×3, first 2 shown]
	v_fma_f16 v73, -0.5, v71, v84
	v_sub_f16_e32 v71, v13, v70
	v_add_f16_e32 v74, v54, v57
	v_sub_f16_e32 v75, v68, v67
	v_sub_f16_e32 v81, v70, v67
	v_fma_f16 v83, -0.5, v83, v52
	v_add_f16_e32 v76, v121, v122
	v_fmac_f16_e32 v42, 0xb8b4, v127
	v_fmac_f16_e32 v63, 0x38b4, v127
	ds_read_u16 v30, v30 offset:952
	v_sub_f16_e32 v72, v53, v55
	v_add_f16_e32 v78, v69, v12
	v_fma_f16 v74, -0.5, v74, v52
	v_sub_f16_e32 v12, v13, v68
	v_add_f16_e32 v69, v71, v75
	v_sub_f16_e32 v71, v53, v54
	v_sub_f16_e32 v75, v55, v57
	v_add_f16_e32 v80, v13, v68
	v_fmamk_f16 v93, v81, 0x3b9c, v83
	v_fmac_f16_e32 v83, 0xbb9c, v81
	v_fmac_f16_e32 v42, 0x34f2, v76
	;; [unrolled: 1-line block ×3, first 2 shown]
	v_sub_f16_e32 v76, v54, v57
	v_fmamk_f16 v77, v72, 0x3b9c, v73
	v_fmamk_f16 v79, v12, 0xbb9c, v74
	v_add_f16_e32 v71, v71, v75
	v_fma_f16 v75, -0.5, v80, v84
	v_sub_f16_e32 v80, v70, v13
	v_fmac_f16_e32 v93, 0xb8b4, v12
	v_fmac_f16_e32 v73, 0xbb9c, v72
	;; [unrolled: 1-line block ×4, first 2 shown]
	v_add_f16_e32 v12, v13, v84
	v_add_f16_e32 v13, v52, v53
	v_fmac_f16_e32 v77, 0x38b4, v76
	v_sub_f16_e32 v91, v54, v53
	v_fmac_f16_e32 v73, 0xb8b4, v76
	v_add_f16_e32 v12, v70, v12
	v_mul_f16_sdwa v53, v50, v87 dst_sel:DWORD dst_unused:UNUSED_PAD src0_sel:DWORD src1_sel:WORD_1
	v_add_f16_e32 v13, v13, v54
	v_mul_f16_sdwa v54, v51, v88 dst_sel:DWORD dst_unused:UNUSED_PAD src0_sel:DWORD src1_sel:WORD_1
	v_fmac_f16_e32 v77, 0x34f2, v69
	v_fmac_f16_e32 v79, 0xb8b4, v81
	v_sub_f16_e32 v85, v67, v68
	v_fmamk_f16 v90, v76, 0xbb9c, v75
	v_fmac_f16_e32 v75, 0x3b9c, v76
	v_fmac_f16_e32 v74, 0x38b4, v81
	;; [unrolled: 1-line block ×3, first 2 shown]
	v_mul_f16_sdwa v52, v47, v86 dst_sel:DWORD dst_unused:UNUSED_PAD src0_sel:DWORD src1_sel:WORD_1
	v_add_f16_e32 v12, v67, v12
	v_fmac_f16_e32 v53, v94, v87
	v_mul_f16_sdwa v67, v48, v89 dst_sel:DWORD dst_unused:UNUSED_PAD src0_sel:DWORD src1_sel:WORD_1
	v_mul_f16_sdwa v69, v97, v86 dst_sel:DWORD dst_unused:UNUSED_PAD src0_sel:DWORD src1_sel:WORD_1
	v_fmac_f16_e32 v54, v103, v88
	v_fmac_f16_e32 v79, 0x34f2, v71
	;; [unrolled: 1-line block ×6, first 2 shown]
	s_waitcnt lgkmcnt(0)
	v_mul_f16_sdwa v70, v30, v89 dst_sel:DWORD dst_unused:UNUSED_PAD src0_sel:DWORD src1_sel:WORD_1
	v_mul_f16_sdwa v71, v94, v87 dst_sel:DWORD dst_unused:UNUSED_PAD src0_sel:DWORD src1_sel:WORD_1
	;; [unrolled: 1-line block ×3, first 2 shown]
	v_fma_f16 v69, v47, v86, -v69
	v_add_f16_e32 v47, v53, v54
	v_fmac_f16_e32 v67, v30, v89
	v_fma_f16 v70, v48, v89, -v70
	v_fma_f16 v30, v50, v87, -v71
	;; [unrolled: 1-line block ×3, first 2 shown]
	v_fma_f16 v71, -0.5, v47, v82
	v_add_f16_e32 v13, v13, v57
	v_sub_f16_e32 v47, v52, v53
	v_sub_f16_e32 v48, v67, v54
	;; [unrolled: 1-line block ×3, first 2 shown]
	v_add_f16_e32 v80, v80, v85
	v_add_f16_e32 v81, v55, v13
	v_sub_f16_e32 v13, v69, v30
	v_add_f16_e32 v55, v47, v48
	v_sub_f16_e32 v47, v70, v50
	v_fmac_f16_e32 v90, 0x34f2, v80
	v_fmac_f16_e32 v75, 0x34f2, v80
	v_add_f16_e32 v80, v68, v12
	v_add_f16_e32 v12, v30, v50
	;; [unrolled: 1-line block ×3, first 2 shown]
	v_mul_hi_u32 v13, 0x44d72045, v28
	v_add_f16_e32 v85, v91, v92
	v_sub_f16_e32 v47, v54, v67
	v_fma_f16 v68, -0.5, v12, v40
	v_add_f16_e32 v12, v52, v67
	v_add_f16_e32 v48, v69, v70
	v_fmac_f16_e32 v93, 0x34f2, v85
	v_fmac_f16_e32 v83, 0x34f2, v85
	v_lshrrev_b32_e32 v13, 5, v13
	v_fma_f16 v85, -0.5, v12, v82
	v_sub_f16_e32 v12, v53, v52
	v_sub_f16_e32 v57, v30, v50
	v_fma_f16 v89, -0.5, v48, v40
	v_mul_lo_u32 v13, 0x77, v13
	v_sub_f16_e32 v48, v50, v70
	v_add_f16_e32 v12, v12, v47
	v_sub_f16_e32 v47, v30, v69
	v_sub_f16_e32 v51, v69, v70
	v_fmamk_f16 v88, v57, 0xbb9c, v85
	v_fmac_f16_e32 v85, 0x3b9c, v57
	v_add_f16_e32 v40, v40, v69
	v_sub_nc_u32_e32 v94, v28, v13
	v_add_f16_e32 v92, v47, v48
	v_fmac_f16_e32 v88, 0x38b4, v51
	v_fmac_f16_e32 v85, 0xb8b4, v51
	v_add_f16_e32 v13, v52, v82
	v_mad_u64_u32 v[47:48], null, s2, v94, 0
	v_fmac_f16_e32 v88, 0x34f2, v12
	v_fmac_f16_e32 v85, 0x34f2, v12
	v_add_f16_e32 v13, v53, v13
	v_add_f16_e32 v30, v40, v30
	v_fmamk_f16 v76, v51, 0x3b9c, v71
	v_fmac_f16_e32 v71, 0xbb9c, v51
	v_mov_b32_e32 v12, v48
	v_add_f16_e32 v40, v54, v13
	v_sub_f16_e32 v87, v53, v54
	v_add_nc_u32_e32 v53, 0xee, v94
	v_fmac_f16_e32 v76, 0x38b4, v57
	v_mad_u64_u32 v[12:13], null, s3, v94, v[12:13]
	v_add_f16_e32 v13, v30, v50
	v_add_f16_e32 v30, v67, v40
	v_add_nc_u32_e32 v50, 0x77, v94
	v_fmac_f16_e32 v71, 0xb8b4, v57
	v_add_nc_u32_e32 v57, 17, v28
	v_add_f16_e32 v40, v70, v13
	v_mov_b32_e32 v48, v12
	v_lshlrev_b64 v[12:13], 2, v[20:21]
	v_mad_u64_u32 v[20:21], null, s2, v50, 0
	v_sub_f16_e32 v72, v52, v67
	v_mul_hi_u32 v52, 0x44d72045, v57
	v_pack_b32_f16 v30, v40, v30
	v_add_co_u32 v12, vcc_lo, v22, v12
	v_add_co_ci_u32_e32 v13, vcc_lo, v23, v13, vcc_lo
	v_lshlrev_b64 v[22:23], 2, v[47:48]
	v_mad_u64_u32 v[47:48], null, s2, v53, 0
	v_add_nc_u32_e32 v40, 0x165, v94
	v_lshrrev_b32_e32 v67, 5, v52
	v_fmamk_f16 v86, v72, 0xbb9c, v68
	v_add_co_u32 v22, vcc_lo, v12, v22
	v_add_co_ci_u32_e32 v23, vcc_lo, v13, v23, vcc_lo
	v_fmac_f16_e32 v68, 0x3b9c, v72
	v_mad_u64_u32 v[50:51], null, s3, v50, v[21:22]
	v_mov_b32_e32 v21, v48
	v_mad_u64_u32 v[51:52], null, s2, v40, 0
	global_store_dword v[22:23], v30, off
	v_fmamk_f16 v91, v87, 0x3b9c, v89
	v_mad_u64_u32 v[53:54], null, s3, v53, v[21:22]
	v_mul_lo_u32 v54, 0x77, v67
	v_mov_b32_e32 v21, v50
	v_mov_b32_e32 v22, v52
	v_fmac_f16_e32 v89, 0xbb9c, v87
	v_fmac_f16_e32 v68, 0x38b4, v87
	v_add_nc_u32_e32 v30, 0x1dc, v94
	v_mov_b32_e32 v48, v53
	v_lshlrev_b64 v[20:21], 2, v[20:21]
	v_sub_nc_u32_e32 v23, v57, v54
	v_fmac_f16_e32 v89, 0x38b4, v72
	v_fmac_f16_e32 v71, 0x34f2, v55
	;; [unrolled: 1-line block ×3, first 2 shown]
	v_lshlrev_b64 v[47:48], 2, v[47:48]
	v_mad_u64_u32 v[52:53], null, s3, v40, v[22:23]
	v_mad_u64_u32 v[22:23], null, 0x253, v67, v[23:24]
	;; [unrolled: 1-line block ×3, first 2 shown]
	v_fmac_f16_e32 v89, 0x34f2, v92
	v_add_co_u32 v20, vcc_lo, v12, v20
	v_lshlrev_b64 v[50:51], 2, v[51:52]
	v_add_nc_u32_e32 v52, 0x77, v22
	v_pack_b32_f16 v40, v68, v71
	v_mad_u64_u32 v[67:68], null, s2, v22, 0
	v_add_co_ci_u32_e32 v21, vcc_lo, v13, v21, vcc_lo
	v_mad_u64_u32 v[69:70], null, s2, v52, 0
	v_add_co_u32 v47, vcc_lo, v12, v47
	v_mov_b32_e32 v23, v54
	v_add_co_ci_u32_e32 v48, vcc_lo, v13, v48, vcc_lo
	v_pack_b32_f16 v57, v89, v85
	v_fmac_f16_e32 v76, 0x34f2, v55
	v_mad_u64_u32 v[54:55], null, s3, v30, v[23:24]
	v_mov_b32_e32 v23, v68
	global_store_dword v[20:21], v40, off
	global_store_dword v[47:48], v57, off
	v_mov_b32_e32 v20, v70
	v_fmac_f16_e32 v91, 0xb8b4, v72
	v_add_co_u32 v50, vcc_lo, v12, v50
	v_mad_u64_u32 v[71:72], null, s3, v22, v[23:24]
	v_mad_u64_u32 v[20:21], null, s3, v52, v[20:21]
	v_fmac_f16_e32 v91, 0x34f2, v92
	v_add_co_ci_u32_e32 v51, vcc_lo, v13, v51, vcc_lo
	v_lshlrev_b64 v[47:48], 2, v[53:54]
	v_mov_b32_e32 v68, v71
	v_pack_b32_f16 v23, v91, v88
	v_mov_b32_e32 v70, v20
	v_add_nc_u32_e32 v71, 34, v28
	v_add_nc_u32_e32 v57, 0x165, v22
	v_fmac_f16_e32 v86, 0xb8b4, v87
	global_store_dword v[50:51], v23, off
	v_add_nc_u32_e32 v23, 0xee, v22
	v_lshlrev_b64 v[52:53], 2, v[69:70]
	v_mul_hi_u32 v69, 0x44d72045, v71
	v_mad_u64_u32 v[54:55], null, s2, v57, 0
	v_mad_u64_u32 v[20:21], null, s2, v23, 0
	v_lshlrev_b64 v[50:51], 2, v[67:68]
	v_add_nc_u32_e32 v70, 0x1dc, v22
	v_add_co_u32 v47, vcc_lo, v12, v47
	v_lshrrev_b32_e32 v72, 5, v69
	v_fmamk_f16 v37, v125, 0x3b9c, v31
	v_fmac_f16_e32 v31, 0xbb9c, v125
	v_fmac_f16_e32 v86, 0x34f2, v84
	v_add_co_ci_u32_e32 v48, vcc_lo, v13, v48, vcc_lo
	v_add_co_u32 v50, vcc_lo, v12, v50
	v_mad_u64_u32 v[67:68], null, s3, v23, v[21:22]
	v_mov_b32_e32 v21, v55
	v_mad_u64_u32 v[22:23], null, s2, v70, 0
	v_mul_lo_u32 v55, 0x77, v72
	v_add_co_ci_u32_e32 v51, vcc_lo, v13, v51, vcc_lo
	v_fmac_f16_e32 v31, 0x38b4, v124
	v_pack_b32_f16 v30, v86, v76
	v_add_co_u32 v52, vcc_lo, v12, v52
	v_pack_b32_f16 v40, v81, v80
	v_add_co_ci_u32_e32 v53, vcc_lo, v13, v53, vcc_lo
	v_pack_b32_f16 v73, v74, v73
	v_fmac_f16_e32 v31, 0x34f2, v107
	v_mad_u64_u32 v[68:69], null, s3, v57, v[21:22]
	global_store_dword v[47:48], v30, off
	global_store_dword v[50:51], v40, off
	;; [unrolled: 1-line block ×3, first 2 shown]
	v_sub_nc_u32_e32 v30, v71, v55
	v_mad_u64_u32 v[47:48], null, s3, v70, v[23:24]
	v_mov_b32_e32 v21, v67
	v_pack_b32_f16 v40, v83, v75
	v_mad_u64_u32 v[50:51], null, 0x253, v72, v[30:31]
	v_mov_b32_e32 v55, v68
	v_lshlrev_b64 v[20:21], 2, v[20:21]
	v_mov_b32_e32 v23, v47
	v_add_nc_u32_e32 v72, 51, v28
	v_pack_b32_f16 v57, v93, v90
	v_lshlrev_b64 v[51:52], 2, v[54:55]
	v_mad_u64_u32 v[47:48], null, s2, v50, 0
	v_add_nc_u32_e32 v55, 0x77, v50
	v_add_nc_u32_e32 v70, 0xee, v50
	v_add_co_u32 v20, vcc_lo, v12, v20
	v_lshlrev_b64 v[22:23], 2, v[22:23]
	v_mad_u64_u32 v[53:54], null, s2, v55, 0
	v_mov_b32_e32 v30, v48
	v_add_co_ci_u32_e32 v21, vcc_lo, v13, v21, vcc_lo
	v_add_co_u32 v51, vcc_lo, v12, v51
	v_mad_u64_u32 v[67:68], null, s3, v50, v[30:31]
	v_mov_b32_e32 v30, v54
	v_mad_u64_u32 v[68:69], null, s2, v70, 0
	v_add_co_ci_u32_e32 v52, vcc_lo, v13, v52, vcc_lo
	v_mad_u64_u32 v[54:55], null, s3, v55, v[30:31]
	v_mul_hi_u32 v30, 0x44d72045, v72
	v_add_co_u32 v22, vcc_lo, v12, v22
	v_add_co_ci_u32_e32 v23, vcc_lo, v13, v23, vcc_lo
	v_pack_b32_f16 v71, v79, v77
	global_store_dword v[20:21], v40, off
	global_store_dword v[51:52], v57, off
	;; [unrolled: 1-line block ×3, first 2 shown]
	v_mov_b32_e32 v22, v69
	v_mov_b32_e32 v48, v67
	v_add_nc_u32_e32 v40, 0x165, v50
	v_lshrrev_b32_e32 v30, 5, v30
	v_add_nc_u32_e32 v67, 0x1dc, v50
	v_mad_u64_u32 v[22:23], null, s3, v70, v[22:23]
	v_lshlrev_b64 v[20:21], 2, v[47:48]
	v_mad_u64_u32 v[47:48], null, s2, v40, 0
	v_mul_lo_u32 v23, 0x77, v30
	v_pack_b32_f16 v70, v78, v56
	v_lshlrev_b64 v[51:52], 2, v[53:54]
	v_mov_b32_e32 v69, v22
	v_add_co_u32 v20, vcc_lo, v12, v20
	v_mad_u64_u32 v[53:54], null, s2, v67, 0
	v_sub_nc_u32_e32 v22, v72, v23
	v_mov_b32_e32 v23, v48
	v_add_co_ci_u32_e32 v21, vcc_lo, v13, v21, vcc_lo
	v_add_co_u32 v50, vcc_lo, v12, v51
	v_mad_u64_u32 v[55:56], null, 0x253, v30, v[22:23]
	v_mad_u64_u32 v[22:23], null, s3, v40, v[23:24]
	v_pack_b32_f16 v30, v61, v60
	v_add_co_ci_u32_e32 v51, vcc_lo, v13, v52, vcc_lo
	v_mov_b32_e32 v23, v54
	v_mad_u64_u32 v[60:61], null, s2, v55, 0
	v_mov_b32_e32 v48, v22
	global_store_dword v[20:21], v70, off
	global_store_dword v[50:51], v30, off
	v_lshlrev_b64 v[56:57], 2, v[68:69]
	v_mad_u64_u32 v[67:68], null, s3, v67, v[23:24]
	v_lshlrev_b64 v[21:22], 2, v[47:48]
	v_mov_b32_e32 v20, v61
	v_add_nc_u32_e32 v30, 0x77, v55
	v_add_co_u32 v56, vcc_lo, v12, v56
	v_add_co_ci_u32_e32 v57, vcc_lo, v13, v57, vcc_lo
	v_mad_u64_u32 v[47:48], null, s3, v55, v[20:21]
	v_pack_b32_f16 v23, v66, v64
	v_mov_b32_e32 v54, v67
	v_fmamk_f16 v16, v118, 0xbb9c, v26
	v_add_co_u32 v20, vcc_lo, v12, v21
	global_store_dword v[56:57], v23, off
	v_mov_b32_e32 v61, v47
	v_mad_u64_u32 v[47:48], null, s2, v30, 0
	v_add_co_ci_u32_e32 v21, vcc_lo, v13, v22, vcc_lo
	v_lshlrev_b64 v[22:23], 2, v[53:54]
	v_pack_b32_f16 v40, v65, v59
	v_add_nc_u32_e32 v54, 0xee, v55
	v_add_nc_u32_e32 v59, 0x44, v28
	v_fmac_f16_e32 v16, 0xb8b4, v119
	v_pack_b32_f16 v58, v58, v15
	v_mov_b32_e32 v15, v48
	v_mad_u64_u32 v[52:53], null, s2, v54, 0
	v_mul_hi_u32 v48, 0x44d72045, v59
	v_fmac_f16_e32 v16, 0x34f2, v114
	v_lshlrev_b64 v[50:51], 2, v[60:61]
	v_pack_b32_f16 v60, v14, v62
	v_add_nc_u32_e32 v61, 0x165, v55
	v_add_co_u32 v22, vcc_lo, v12, v22
	v_mad_u64_u32 v[14:15], null, s3, v30, v[15:16]
	v_mov_b32_e32 v15, v53
	v_lshrrev_b32_e32 v30, 5, v48
	v_mad_u64_u32 v[56:57], null, s2, v61, 0
	v_add_co_ci_u32_e32 v23, vcc_lo, v13, v23, vcc_lo
	v_mad_u64_u32 v[53:54], null, s3, v54, v[15:16]
	v_mul_lo_u32 v15, 0x77, v30
	v_add_co_u32 v50, vcc_lo, v12, v50
	v_mov_b32_e32 v48, v14
	v_mov_b32_e32 v14, v57
	v_add_co_ci_u32_e32 v51, vcc_lo, v13, v51, vcc_lo
	v_fmamk_f16 v49, v127, 0x3b9c, v44
	v_sub_nc_u32_e32 v15, v59, v15
	v_fmac_f16_e32 v44, 0xbb9c, v127
	global_store_dword v[20:21], v40, off
	global_store_dword v[22:23], v58, off
	;; [unrolled: 1-line block ×3, first 2 shown]
	v_add_nc_u32_e32 v40, 0x1dc, v55
	v_add_f16_e32 v95, v131, v132
	v_mad_u64_u32 v[22:23], null, s3, v61, v[14:15]
	v_fmac_f16_e32 v44, 0x38b4, v126
	v_mad_u64_u32 v[50:51], null, s2, v40, 0
	v_mad_u64_u32 v[14:15], null, 0x253, v30, v[15:16]
	v_fmac_f16_e32 v44, 0x34f2, v95
	v_lshlrev_b64 v[20:21], 2, v[47:48]
	v_mov_b32_e32 v57, v22
	v_pack_b32_f16 v30, v63, v46
	v_lshlrev_b64 v[46:47], 2, v[52:53]
	v_mov_b32_e32 v15, v51
	v_mad_u64_u32 v[22:23], null, s2, v14, 0
	v_pack_b32_f16 v48, v44, v43
	v_lshlrev_b64 v[43:44], 2, v[56:57]
	v_add_nc_u32_e32 v56, 0x77, v14
	v_add_co_u32 v20, vcc_lo, v12, v20
	v_fmac_f16_e32 v49, 0xb8b4, v126
	v_add_co_ci_u32_e32 v21, vcc_lo, v13, v21, vcc_lo
	v_add_co_u32 v46, vcc_lo, v12, v46
	v_mad_u64_u32 v[51:52], null, s3, v40, v[15:16]
	v_mad_u64_u32 v[52:53], null, s2, v56, 0
	v_add_co_ci_u32_e32 v47, vcc_lo, v13, v47, vcc_lo
	v_fmac_f16_e32 v49, 0x34f2, v95
	v_mov_b32_e32 v15, v23
	global_store_dword v[20:21], v30, off
	global_store_dword v[46:47], v48, off
	v_add_nc_u32_e32 v30, 0xee, v14
	v_add_co_u32 v43, vcc_lo, v12, v43
	v_add_co_ci_u32_e32 v44, vcc_lo, v13, v44, vcc_lo
	v_mad_u64_u32 v[54:55], null, s3, v14, v[15:16]
	v_pack_b32_f16 v23, v49, v45
	v_mov_b32_e32 v15, v53
	v_pack_b32_f16 v46, v42, v41
	v_mad_u64_u32 v[40:41], null, s2, v30, 0
	global_store_dword v[43:44], v23, off
	v_mad_u64_u32 v[43:44], null, s3, v56, v[15:16]
	v_add_nc_u32_e32 v49, 0x55, v28
	v_add_nc_u32_e32 v48, 0x165, v14
	v_fmamk_f16 v33, v124, 0xbb9c, v35
	v_fmac_f16_e32 v35, 0x3b9c, v124
	v_mov_b32_e32 v15, v41
	v_mul_hi_u32 v41, 0x44d72045, v49
	v_mov_b32_e32 v23, v54
	v_mov_b32_e32 v53, v43
	v_mad_u64_u32 v[42:43], null, s2, v48, 0
	v_fmac_f16_e32 v35, 0x38b4, v125
	v_lshlrev_b64 v[20:21], 2, v[50:51]
	v_lshlrev_b64 v[22:23], 2, v[22:23]
	v_mad_u64_u32 v[44:45], null, s3, v30, v[15:16]
	v_lshrrev_b32_e32 v45, 5, v41
	v_fmac_f16_e32 v35, 0x34f2, v99
	v_add_nc_u32_e32 v30, 0x1dc, v14
	v_add_co_u32 v20, vcc_lo, v12, v20
	v_pack_b32_f16 v47, v39, v38
	v_lshlrev_b64 v[38:39], 2, v[52:53]
	v_mov_b32_e32 v14, v43
	v_add_co_ci_u32_e32 v21, vcc_lo, v13, v21, vcc_lo
	v_add_co_u32 v22, vcc_lo, v12, v22
	v_mul_lo_u32 v43, 0x77, v45
	v_pack_b32_f16 v50, v35, v34
	v_mad_u64_u32 v[34:35], null, s2, v30, 0
	v_add_co_ci_u32_e32 v23, vcc_lo, v13, v23, vcc_lo
	v_add_co_u32 v38, vcc_lo, v12, v38
	v_mad_u64_u32 v[14:15], null, s3, v48, v[14:15]
	v_add_co_ci_u32_e32 v39, vcc_lo, v13, v39, vcc_lo
	v_fmamk_f16 v36, v116, 0xbb9c, v29
	v_fmac_f16_e32 v29, 0x3b9c, v116
	v_mov_b32_e32 v41, v44
	global_store_dword v[20:21], v46, off
	global_store_dword v[22:23], v47, off
	;; [unrolled: 1-line block ×3, first 2 shown]
	v_sub_nc_u32_e32 v22, v49, v43
	v_mov_b32_e32 v15, v35
	v_fmac_f16_e32 v29, 0xb8b4, v117
	v_mov_b32_e32 v43, v14
	v_lshlrev_b64 v[20:21], 2, v[40:41]
	v_mad_u64_u32 v[22:23], null, 0x253, v45, v[22:23]
	v_mad_u64_u32 v[14:15], null, s3, v30, v[15:16]
	v_fmac_f16_e32 v29, 0x34f2, v106
	v_lshlrev_b64 v[38:39], 2, v[42:43]
	v_add_co_u32 v20, vcc_lo, v12, v20
	v_add_co_ci_u32_e32 v21, vcc_lo, v13, v21, vcc_lo
	v_pack_b32_f16 v41, v31, v29
	v_mad_u64_u32 v[29:30], null, s2, v22, 0
	v_mov_b32_e32 v35, v14
	v_add_co_u32 v14, vcc_lo, v12, v38
	v_fmac_f16_e32 v36, 0x38b4, v117
	v_fmac_f16_e32 v37, 0xb8b4, v124
	v_add_co_ci_u32_e32 v15, vcc_lo, v13, v39, vcc_lo
	v_add_nc_u32_e32 v39, 0x77, v22
	v_fmac_f16_e32 v36, 0x34f2, v106
	v_fmac_f16_e32 v37, 0x34f2, v107
	v_mov_b32_e32 v23, v30
	v_lshlrev_b64 v[30:31], 2, v[34:35]
	v_mad_u64_u32 v[34:35], null, s2, v39, 0
	v_fmac_f16_e32 v33, 0xb8b4, v125
	v_pack_b32_f16 v42, v37, v36
	v_mad_u64_u32 v[36:37], null, s3, v22, v[23:24]
	v_add_nc_u32_e32 v43, 0xee, v22
	v_fmac_f16_e32 v33, 0x34f2, v99
	v_mov_b32_e32 v23, v35
	v_add_co_u32 v37, vcc_lo, v12, v30
	v_add_co_ci_u32_e32 v38, vcc_lo, v13, v31, vcc_lo
	v_mad_u64_u32 v[39:40], null, s3, v39, v[23:24]
	v_mov_b32_e32 v30, v36
	v_add_nc_u32_e32 v23, 0x165, v22
	v_pack_b32_f16 v33, v33, v32
	v_mad_u64_u32 v[31:32], null, s2, v43, 0
	global_store_dword v[20:21], v41, off
	global_store_dword v[14:15], v42, off
	;; [unrolled: 1-line block ×3, first 2 shown]
	v_lshlrev_b64 v[14:15], 2, v[29:30]
	v_mad_u64_u32 v[29:30], null, s2, v23, 0
	v_add_nc_u32_e32 v33, 0x66, v28
	v_fmac_f16_e32 v26, 0x3b9c, v118
	v_mov_b32_e32 v20, v32
	v_mov_b32_e32 v35, v39
	v_pack_b32_f16 v36, v27, v19
	v_fmamk_f16 v17, v110, 0xbb9c, v10
	v_mov_b32_e32 v19, v30
	v_mul_hi_u32 v30, 0x44d72045, v33
	v_mad_u64_u32 v[20:21], null, s3, v43, v[20:21]
	v_fmac_f16_e32 v26, 0x38b4, v119
	v_lshlrev_b64 v[27:28], 2, v[34:35]
	v_fmamk_f16 v18, v119, 0x3b9c, v25
	v_fmac_f16_e32 v10, 0x3b9c, v110
	v_fmac_f16_e32 v25, 0xbb9c, v119
	v_add_co_u32 v14, vcc_lo, v12, v14
	v_add_nc_u32_e32 v34, 0x1dc, v22
	v_fmac_f16_e32 v26, 0x34f2, v114
	v_lshrrev_b32_e32 v35, 5, v30
	v_add_co_ci_u32_e32 v15, vcc_lo, v13, v15, vcc_lo
	v_mov_b32_e32 v32, v20
	v_mad_u64_u32 v[19:20], null, s3, v23, v[19:20]
	v_add_co_u32 v20, vcc_lo, v12, v27
	v_fmac_f16_e32 v10, 0xb8b4, v111
	v_fmac_f16_e32 v25, 0x38b4, v118
	v_add_co_ci_u32_e32 v21, vcc_lo, v13, v28, vcc_lo
	v_mad_u64_u32 v[27:28], null, s2, v34, 0
	v_pack_b32_f16 v26, v26, v24
	v_mul_lo_u32 v24, 0x77, v35
	v_fmac_f16_e32 v10, 0x34f2, v115
	v_fmac_f16_e32 v25, 0x34f2, v104
	v_mov_b32_e32 v30, v19
	v_lshlrev_b64 v[22:23], 2, v[31:32]
	v_mov_b32_e32 v19, v28
	v_fmac_f16_e32 v17, 0x38b4, v111
	v_pack_b32_f16 v31, v25, v10
	v_sub_nc_u32_e32 v10, v33, v24
	v_fmac_f16_e32 v18, 0xb8b4, v118
	v_lshlrev_b64 v[24:25], 2, v[29:30]
	v_mad_u64_u32 v[28:29], null, s3, v34, v[19:20]
	v_mad_u64_u32 v[29:30], null, 0x253, v35, v[10:11]
	v_fmac_f16_e32 v17, 0x34f2, v115
	v_fmac_f16_e32 v18, 0x34f2, v104
	v_add_co_u32 v22, vcc_lo, v12, v22
	v_add_co_ci_u32_e32 v23, vcc_lo, v13, v23, vcc_lo
	v_add_co_u32 v24, vcc_lo, v12, v24
	v_add_co_ci_u32_e32 v25, vcc_lo, v13, v25, vcc_lo
	v_pack_b32_f16 v10, v18, v17
	global_store_dword v[14:15], v36, off
	global_store_dword v[20:21], v26, off
	;; [unrolled: 1-line block ×4, first 2 shown]
	v_add_nc_u32_e32 v25, 0x77, v29
	v_mad_u64_u32 v[17:18], null, s2, v29, 0
	v_add_nc_u32_e32 v26, 0xee, v29
	v_lshlrev_b64 v[14:15], 2, v[27:28]
	v_mad_u64_u32 v[19:20], null, s2, v25, 0
	v_pack_b32_f16 v16, v16, v11
	v_mad_u64_u32 v[21:22], null, s2, v26, 0
	v_mov_b32_e32 v10, v18
	v_add_nc_u32_e32 v27, 0x165, v29
	v_add_co_u32 v14, vcc_lo, v12, v14
	v_mov_b32_e32 v18, v20
	v_mad_u64_u32 v[23:24], null, s3, v29, v[10:11]
	v_add_co_ci_u32_e32 v15, vcc_lo, v13, v15, vcc_lo
	v_mad_u64_u32 v[10:11], null, s3, v25, v[18:19]
	v_mov_b32_e32 v11, v22
	v_mad_u64_u32 v[24:25], null, s2, v27, 0
	v_mov_b32_e32 v18, v23
	global_store_dword v[14:15], v16, off
	v_mad_u64_u32 v[22:23], null, s3, v26, v[11:12]
	v_add_nc_u32_e32 v23, 0x1dc, v29
	v_lshlrev_b64 v[14:15], 2, v[17:18]
	v_mov_b32_e32 v20, v10
	v_mov_b32_e32 v10, v25
	v_pack_b32_f16 v26, v9, v8
	v_mad_u64_u32 v[16:17], null, s2, v23, 0
	v_lshlrev_b64 v[8:9], 2, v[19:20]
	v_mad_u64_u32 v[10:11], null, s3, v27, v[10:11]
	v_lshlrev_b64 v[18:19], 2, v[21:22]
	v_fmac_f16_e32 v3, 0x34f2, v105
	v_add_co_u32 v14, vcc_lo, v12, v14
	v_mov_b32_e32 v11, v17
	v_fmac_f16_e32 v6, 0x34f2, v108
	v_mov_b32_e32 v25, v10
	v_fmac_f16_e32 v7, 0x34f2, v109
	v_add_co_ci_u32_e32 v15, vcc_lo, v13, v15, vcc_lo
	v_mad_u64_u32 v[20:21], null, s3, v23, v[11:12]
	v_add_co_u32 v8, vcc_lo, v12, v8
	v_pack_b32_f16 v21, v3, v2
	v_lshlrev_b64 v[2:3], 2, v[24:25]
	v_add_co_ci_u32_e32 v9, vcc_lo, v13, v9, vcc_lo
	v_mov_b32_e32 v17, v20
	v_add_co_u32 v10, vcc_lo, v12, v18
	v_pack_b32_f16 v18, v7, v6
	v_fmac_f16_e32 v0, 0x34f2, v108
	v_lshlrev_b64 v[6:7], 2, v[16:17]
	v_fmac_f16_e32 v1, 0x34f2, v109
	v_add_co_ci_u32_e32 v11, vcc_lo, v13, v19, vcc_lo
	v_fmac_f16_e32 v5, 0x34f2, v105
	v_add_co_u32 v2, vcc_lo, v12, v2
	v_add_co_ci_u32_e32 v3, vcc_lo, v13, v3, vcc_lo
	v_pack_b32_f16 v16, v1, v0
	v_add_co_u32 v0, vcc_lo, v12, v6
	v_add_co_ci_u32_e32 v1, vcc_lo, v13, v7, vcc_lo
	v_pack_b32_f16 v4, v5, v4
	global_store_dword v[14:15], v26, off
	global_store_dword v[8:9], v21, off
	;; [unrolled: 1-line block ×5, first 2 shown]
.LBB0_22:
	s_endpgm
	.section	.rodata,"a",@progbits
	.p2align	6, 0x0
	.amdhsa_kernel fft_rtc_fwd_len595_factors_7_17_5_wgs_51_tpt_17_halfLds_half_op_CI_CI_sbrr_dirReg
		.amdhsa_group_segment_fixed_size 0
		.amdhsa_private_segment_fixed_size 0
		.amdhsa_kernarg_size 104
		.amdhsa_user_sgpr_count 6
		.amdhsa_user_sgpr_private_segment_buffer 1
		.amdhsa_user_sgpr_dispatch_ptr 0
		.amdhsa_user_sgpr_queue_ptr 0
		.amdhsa_user_sgpr_kernarg_segment_ptr 1
		.amdhsa_user_sgpr_dispatch_id 0
		.amdhsa_user_sgpr_flat_scratch_init 0
		.amdhsa_user_sgpr_private_segment_size 0
		.amdhsa_wavefront_size32 1
		.amdhsa_uses_dynamic_stack 0
		.amdhsa_system_sgpr_private_segment_wavefront_offset 0
		.amdhsa_system_sgpr_workgroup_id_x 1
		.amdhsa_system_sgpr_workgroup_id_y 0
		.amdhsa_system_sgpr_workgroup_id_z 0
		.amdhsa_system_sgpr_workgroup_info 0
		.amdhsa_system_vgpr_workitem_id 0
		.amdhsa_next_free_vgpr 210
		.amdhsa_next_free_sgpr 31
		.amdhsa_reserve_vcc 1
		.amdhsa_reserve_flat_scratch 0
		.amdhsa_float_round_mode_32 0
		.amdhsa_float_round_mode_16_64 0
		.amdhsa_float_denorm_mode_32 3
		.amdhsa_float_denorm_mode_16_64 3
		.amdhsa_dx10_clamp 1
		.amdhsa_ieee_mode 1
		.amdhsa_fp16_overflow 0
		.amdhsa_workgroup_processor_mode 1
		.amdhsa_memory_ordered 1
		.amdhsa_forward_progress 0
		.amdhsa_shared_vgpr_count 0
		.amdhsa_exception_fp_ieee_invalid_op 0
		.amdhsa_exception_fp_denorm_src 0
		.amdhsa_exception_fp_ieee_div_zero 0
		.amdhsa_exception_fp_ieee_overflow 0
		.amdhsa_exception_fp_ieee_underflow 0
		.amdhsa_exception_fp_ieee_inexact 0
		.amdhsa_exception_int_div_zero 0
	.end_amdhsa_kernel
	.text
.Lfunc_end0:
	.size	fft_rtc_fwd_len595_factors_7_17_5_wgs_51_tpt_17_halfLds_half_op_CI_CI_sbrr_dirReg, .Lfunc_end0-fft_rtc_fwd_len595_factors_7_17_5_wgs_51_tpt_17_halfLds_half_op_CI_CI_sbrr_dirReg
                                        ; -- End function
	.section	.AMDGPU.csdata,"",@progbits
; Kernel info:
; codeLenInByte = 32056
; NumSgprs: 33
; NumVgprs: 210
; ScratchSize: 0
; MemoryBound: 0
; FloatMode: 240
; IeeeMode: 1
; LDSByteSize: 0 bytes/workgroup (compile time only)
; SGPRBlocks: 4
; VGPRBlocks: 26
; NumSGPRsForWavesPerEU: 33
; NumVGPRsForWavesPerEU: 210
; Occupancy: 4
; WaveLimiterHint : 1
; COMPUTE_PGM_RSRC2:SCRATCH_EN: 0
; COMPUTE_PGM_RSRC2:USER_SGPR: 6
; COMPUTE_PGM_RSRC2:TRAP_HANDLER: 0
; COMPUTE_PGM_RSRC2:TGID_X_EN: 1
; COMPUTE_PGM_RSRC2:TGID_Y_EN: 0
; COMPUTE_PGM_RSRC2:TGID_Z_EN: 0
; COMPUTE_PGM_RSRC2:TIDIG_COMP_CNT: 0
	.text
	.p2alignl 6, 3214868480
	.fill 48, 4, 3214868480
	.type	__hip_cuid_c9f980333f53fd67,@object ; @__hip_cuid_c9f980333f53fd67
	.section	.bss,"aw",@nobits
	.globl	__hip_cuid_c9f980333f53fd67
__hip_cuid_c9f980333f53fd67:
	.byte	0                               ; 0x0
	.size	__hip_cuid_c9f980333f53fd67, 1

	.ident	"AMD clang version 19.0.0git (https://github.com/RadeonOpenCompute/llvm-project roc-6.4.0 25133 c7fe45cf4b819c5991fe208aaa96edf142730f1d)"
	.section	".note.GNU-stack","",@progbits
	.addrsig
	.addrsig_sym __hip_cuid_c9f980333f53fd67
	.amdgpu_metadata
---
amdhsa.kernels:
  - .args:
      - .actual_access:  read_only
        .address_space:  global
        .offset:         0
        .size:           8
        .value_kind:     global_buffer
      - .offset:         8
        .size:           8
        .value_kind:     by_value
      - .actual_access:  read_only
        .address_space:  global
        .offset:         16
        .size:           8
        .value_kind:     global_buffer
      - .actual_access:  read_only
        .address_space:  global
        .offset:         24
        .size:           8
        .value_kind:     global_buffer
      - .actual_access:  read_only
        .address_space:  global
        .offset:         32
        .size:           8
        .value_kind:     global_buffer
      - .offset:         40
        .size:           8
        .value_kind:     by_value
      - .actual_access:  read_only
        .address_space:  global
        .offset:         48
        .size:           8
        .value_kind:     global_buffer
      - .actual_access:  read_only
        .address_space:  global
        .offset:         56
        .size:           8
        .value_kind:     global_buffer
      - .offset:         64
        .size:           4
        .value_kind:     by_value
      - .actual_access:  read_only
        .address_space:  global
        .offset:         72
        .size:           8
        .value_kind:     global_buffer
      - .actual_access:  read_only
        .address_space:  global
        .offset:         80
        .size:           8
        .value_kind:     global_buffer
      - .actual_access:  read_only
        .address_space:  global
        .offset:         88
        .size:           8
        .value_kind:     global_buffer
      - .actual_access:  write_only
        .address_space:  global
        .offset:         96
        .size:           8
        .value_kind:     global_buffer
    .group_segment_fixed_size: 0
    .kernarg_segment_align: 8
    .kernarg_segment_size: 104
    .language:       OpenCL C
    .language_version:
      - 2
      - 0
    .max_flat_workgroup_size: 51
    .name:           fft_rtc_fwd_len595_factors_7_17_5_wgs_51_tpt_17_halfLds_half_op_CI_CI_sbrr_dirReg
    .private_segment_fixed_size: 0
    .sgpr_count:     33
    .sgpr_spill_count: 0
    .symbol:         fft_rtc_fwd_len595_factors_7_17_5_wgs_51_tpt_17_halfLds_half_op_CI_CI_sbrr_dirReg.kd
    .uniform_work_group_size: 1
    .uses_dynamic_stack: false
    .vgpr_count:     210
    .vgpr_spill_count: 0
    .wavefront_size: 32
    .workgroup_processor_mode: 1
amdhsa.target:   amdgcn-amd-amdhsa--gfx1030
amdhsa.version:
  - 1
  - 2
...

	.end_amdgpu_metadata
